;; amdgpu-corpus repo=ROCm/rocFFT kind=compiled arch=gfx1030 opt=O3
	.text
	.amdgcn_target "amdgcn-amd-amdhsa--gfx1030"
	.amdhsa_code_object_version 6
	.protected	fft_rtc_back_len595_factors_7_17_5_wgs_51_tpt_17_halfLds_sp_ip_CI_unitstride_sbrr_dirReg ; -- Begin function fft_rtc_back_len595_factors_7_17_5_wgs_51_tpt_17_halfLds_sp_ip_CI_unitstride_sbrr_dirReg
	.globl	fft_rtc_back_len595_factors_7_17_5_wgs_51_tpt_17_halfLds_sp_ip_CI_unitstride_sbrr_dirReg
	.p2align	8
	.type	fft_rtc_back_len595_factors_7_17_5_wgs_51_tpt_17_halfLds_sp_ip_CI_unitstride_sbrr_dirReg,@function
fft_rtc_back_len595_factors_7_17_5_wgs_51_tpt_17_halfLds_sp_ip_CI_unitstride_sbrr_dirReg: ; @fft_rtc_back_len595_factors_7_17_5_wgs_51_tpt_17_halfLds_sp_ip_CI_unitstride_sbrr_dirReg
; %bb.0:
	s_load_dwordx4 s[8:11], s[4:5], 0x0
	v_mul_u32_u24_e32 v1, 0xf10, v0
	s_clause 0x1
	s_load_dwordx2 s[2:3], s[4:5], 0x50
	s_load_dwordx2 s[12:13], s[4:5], 0x18
	v_mov_b32_e32 v6, 0
	v_lshrrev_b32_e32 v1, 16, v1
	v_mad_u64_u32 v[4:5], null, s6, 3, v[1:2]
	v_mov_b32_e32 v5, v6
	v_mov_b32_e32 v1, 0
	;; [unrolled: 1-line block ×5, first 2 shown]
	s_waitcnt lgkmcnt(0)
	v_cmp_lt_u64_e64 s0, s[10:11], 2
	s_and_b32 vcc_lo, exec_lo, s0
	s_cbranch_vccnz .LBB0_8
; %bb.1:
	s_load_dwordx2 s[0:1], s[4:5], 0x10
	v_mov_b32_e32 v1, 0
	v_mov_b32_e32 v9, v5
	s_add_u32 s6, s12, 8
	v_mov_b32_e32 v2, 0
	v_mov_b32_e32 v8, v4
	s_addc_u32 s7, s13, 0
	s_mov_b64 s[16:17], 1
	s_waitcnt lgkmcnt(0)
	s_add_u32 s14, s0, 8
	s_addc_u32 s15, s1, 0
.LBB0_2:                                ; =>This Inner Loop Header: Depth=1
	s_load_dwordx2 s[18:19], s[14:15], 0x0
                                        ; implicit-def: $vgpr10_vgpr11
	s_mov_b32 s0, exec_lo
	s_waitcnt lgkmcnt(0)
	v_or_b32_e32 v7, s19, v9
	v_cmpx_ne_u64_e32 0, v[6:7]
	s_xor_b32 s1, exec_lo, s0
	s_cbranch_execz .LBB0_4
; %bb.3:                                ;   in Loop: Header=BB0_2 Depth=1
	v_cvt_f32_u32_e32 v3, s18
	v_cvt_f32_u32_e32 v5, s19
	s_sub_u32 s0, 0, s18
	s_subb_u32 s20, 0, s19
	v_fmac_f32_e32 v3, 0x4f800000, v5
	v_rcp_f32_e32 v3, v3
	v_mul_f32_e32 v3, 0x5f7ffffc, v3
	v_mul_f32_e32 v5, 0x2f800000, v3
	v_trunc_f32_e32 v5, v5
	v_fmac_f32_e32 v3, 0xcf800000, v5
	v_cvt_u32_f32_e32 v5, v5
	v_cvt_u32_f32_e32 v3, v3
	v_mul_lo_u32 v7, s0, v5
	v_mul_hi_u32 v10, s0, v3
	v_mul_lo_u32 v11, s20, v3
	v_add_nc_u32_e32 v7, v10, v7
	v_mul_lo_u32 v10, s0, v3
	v_add_nc_u32_e32 v7, v7, v11
	v_mul_hi_u32 v11, v3, v10
	v_mul_lo_u32 v12, v3, v7
	v_mul_hi_u32 v13, v3, v7
	v_mul_hi_u32 v14, v5, v10
	v_mul_lo_u32 v10, v5, v10
	v_mul_hi_u32 v15, v5, v7
	v_mul_lo_u32 v7, v5, v7
	v_add_co_u32 v11, vcc_lo, v11, v12
	v_add_co_ci_u32_e32 v12, vcc_lo, 0, v13, vcc_lo
	v_add_co_u32 v10, vcc_lo, v11, v10
	v_add_co_ci_u32_e32 v10, vcc_lo, v12, v14, vcc_lo
	v_add_co_ci_u32_e32 v11, vcc_lo, 0, v15, vcc_lo
	v_add_co_u32 v7, vcc_lo, v10, v7
	v_add_co_ci_u32_e32 v10, vcc_lo, 0, v11, vcc_lo
	v_add_co_u32 v3, vcc_lo, v3, v7
	v_add_co_ci_u32_e32 v5, vcc_lo, v5, v10, vcc_lo
	v_mul_hi_u32 v7, s0, v3
	v_mul_lo_u32 v11, s20, v3
	v_mul_lo_u32 v10, s0, v5
	v_add_nc_u32_e32 v7, v7, v10
	v_mul_lo_u32 v10, s0, v3
	v_add_nc_u32_e32 v7, v7, v11
	v_mul_hi_u32 v11, v3, v10
	v_mul_lo_u32 v12, v3, v7
	v_mul_hi_u32 v13, v3, v7
	v_mul_hi_u32 v14, v5, v10
	v_mul_lo_u32 v10, v5, v10
	v_mul_hi_u32 v15, v5, v7
	v_mul_lo_u32 v7, v5, v7
	v_add_co_u32 v11, vcc_lo, v11, v12
	v_add_co_ci_u32_e32 v12, vcc_lo, 0, v13, vcc_lo
	v_add_co_u32 v10, vcc_lo, v11, v10
	v_add_co_ci_u32_e32 v10, vcc_lo, v12, v14, vcc_lo
	v_add_co_ci_u32_e32 v11, vcc_lo, 0, v15, vcc_lo
	v_add_co_u32 v7, vcc_lo, v10, v7
	v_add_co_ci_u32_e32 v10, vcc_lo, 0, v11, vcc_lo
	v_add_co_u32 v3, vcc_lo, v3, v7
	v_add_co_ci_u32_e32 v5, vcc_lo, v5, v10, vcc_lo
	v_mul_hi_u32 v7, v8, v3
	v_mad_u64_u32 v[12:13], null, v9, v3, 0
	v_mad_u64_u32 v[10:11], null, v8, v5, 0
	v_mad_u64_u32 v[14:15], null, v9, v5, 0
	v_add_co_u32 v3, vcc_lo, v7, v10
	v_add_co_ci_u32_e32 v5, vcc_lo, 0, v11, vcc_lo
	v_add_co_u32 v3, vcc_lo, v3, v12
	v_add_co_ci_u32_e32 v3, vcc_lo, v5, v13, vcc_lo
	v_add_co_ci_u32_e32 v5, vcc_lo, 0, v15, vcc_lo
	v_add_co_u32 v3, vcc_lo, v3, v14
	v_add_co_ci_u32_e32 v5, vcc_lo, 0, v5, vcc_lo
	v_mul_lo_u32 v7, s19, v3
	v_mad_u64_u32 v[10:11], null, s18, v3, 0
	v_mul_lo_u32 v12, s18, v5
	v_sub_co_u32 v10, vcc_lo, v8, v10
	v_add3_u32 v7, v11, v12, v7
	v_sub_nc_u32_e32 v11, v9, v7
	v_subrev_co_ci_u32_e64 v11, s0, s19, v11, vcc_lo
	v_add_co_u32 v12, s0, v3, 2
	v_add_co_ci_u32_e64 v13, s0, 0, v5, s0
	v_sub_co_u32 v14, s0, v10, s18
	v_sub_co_ci_u32_e32 v7, vcc_lo, v9, v7, vcc_lo
	v_subrev_co_ci_u32_e64 v11, s0, 0, v11, s0
	v_cmp_le_u32_e32 vcc_lo, s18, v14
	v_cmp_eq_u32_e64 s0, s19, v7
	v_cndmask_b32_e64 v14, 0, -1, vcc_lo
	v_cmp_le_u32_e32 vcc_lo, s19, v11
	v_cndmask_b32_e64 v15, 0, -1, vcc_lo
	v_cmp_le_u32_e32 vcc_lo, s18, v10
	;; [unrolled: 2-line block ×3, first 2 shown]
	v_cndmask_b32_e64 v16, 0, -1, vcc_lo
	v_cmp_eq_u32_e32 vcc_lo, s19, v11
	v_cndmask_b32_e64 v7, v16, v10, s0
	v_cndmask_b32_e32 v11, v15, v14, vcc_lo
	v_add_co_u32 v14, vcc_lo, v3, 1
	v_add_co_ci_u32_e32 v15, vcc_lo, 0, v5, vcc_lo
	v_cmp_ne_u32_e32 vcc_lo, 0, v11
	v_cndmask_b32_e32 v10, v15, v13, vcc_lo
	v_cndmask_b32_e32 v12, v14, v12, vcc_lo
	v_cmp_ne_u32_e32 vcc_lo, 0, v7
	v_cndmask_b32_e32 v11, v5, v10, vcc_lo
	v_cndmask_b32_e32 v10, v3, v12, vcc_lo
.LBB0_4:                                ;   in Loop: Header=BB0_2 Depth=1
	s_andn2_saveexec_b32 s0, s1
	s_cbranch_execz .LBB0_6
; %bb.5:                                ;   in Loop: Header=BB0_2 Depth=1
	v_cvt_f32_u32_e32 v3, s18
	s_sub_i32 s1, 0, s18
	v_mov_b32_e32 v11, v6
	v_rcp_iflag_f32_e32 v3, v3
	v_mul_f32_e32 v3, 0x4f7ffffe, v3
	v_cvt_u32_f32_e32 v3, v3
	v_mul_lo_u32 v5, s1, v3
	v_mul_hi_u32 v5, v3, v5
	v_add_nc_u32_e32 v3, v3, v5
	v_mul_hi_u32 v3, v8, v3
	v_mul_lo_u32 v5, v3, s18
	v_add_nc_u32_e32 v7, 1, v3
	v_sub_nc_u32_e32 v5, v8, v5
	v_subrev_nc_u32_e32 v10, s18, v5
	v_cmp_le_u32_e32 vcc_lo, s18, v5
	v_cndmask_b32_e32 v5, v5, v10, vcc_lo
	v_cndmask_b32_e32 v3, v3, v7, vcc_lo
	v_cmp_le_u32_e32 vcc_lo, s18, v5
	v_add_nc_u32_e32 v7, 1, v3
	v_cndmask_b32_e32 v10, v3, v7, vcc_lo
.LBB0_6:                                ;   in Loop: Header=BB0_2 Depth=1
	s_or_b32 exec_lo, exec_lo, s0
	s_load_dwordx2 s[0:1], s[6:7], 0x0
	v_mul_lo_u32 v3, v11, s18
	v_mul_lo_u32 v5, v10, s19
	v_mad_u64_u32 v[12:13], null, v10, s18, 0
	s_add_u32 s16, s16, 1
	s_addc_u32 s17, s17, 0
	s_add_u32 s6, s6, 8
	s_addc_u32 s7, s7, 0
	;; [unrolled: 2-line block ×3, first 2 shown]
	v_add3_u32 v3, v13, v5, v3
	v_sub_co_u32 v5, vcc_lo, v8, v12
	v_sub_co_ci_u32_e32 v3, vcc_lo, v9, v3, vcc_lo
	s_waitcnt lgkmcnt(0)
	v_mul_lo_u32 v7, s1, v5
	v_mul_lo_u32 v3, s0, v3
	v_mad_u64_u32 v[1:2], null, s0, v5, v[1:2]
	v_cmp_ge_u64_e64 s0, s[16:17], s[10:11]
	s_and_b32 vcc_lo, exec_lo, s0
	v_add3_u32 v2, v7, v2, v3
	s_cbranch_vccnz .LBB0_8
; %bb.7:                                ;   in Loop: Header=BB0_2 Depth=1
	v_mov_b32_e32 v8, v10
	v_mov_b32_e32 v9, v11
	s_branch .LBB0_2
.LBB0_8:
	s_lshl_b64 s[0:1], s[10:11], 3
	s_load_dwordx2 s[4:5], s[4:5], 0x20
	s_add_u32 s0, s12, s0
	s_addc_u32 s1, s13, s1
	v_mul_hi_u32 v3, 0xf0f0f10, v0
	s_load_dwordx2 s[0:1], s[0:1], 0x0
	v_mov_b32_e32 v103, 0
	v_mov_b32_e32 v104, 0
	;; [unrolled: 1-line block ×18, first 2 shown]
	s_waitcnt lgkmcnt(0)
	v_cmp_gt_u64_e32 vcc_lo, s[4:5], v[10:11]
	v_mul_lo_u32 v7, s0, v11
	v_mul_lo_u32 v8, s1, v10
	v_mad_u64_u32 v[5:6], null, s0, v10, v[1:2]
	v_mul_u32_u24_e32 v1, 17, v3
	v_mov_b32_e32 v2, v103
	v_mov_b32_e32 v52, v103
	;; [unrolled: 1-line block ×4, first 2 shown]
	v_sub_nc_u32_e32 v26, v0, v1
	v_add3_u32 v6, v8, v6, v7
	v_mov_b32_e32 v0, v103
	v_mov_b32_e32 v102, v104
	;; [unrolled: 1-line block ×4, first 2 shown]
	v_lshlrev_b64 v[24:25], 3, v[5:6]
	v_mov_b32_e32 v94, v104
	v_mov_b32_e32 v86, v104
	;; [unrolled: 1-line block ×14, first 2 shown]
                                        ; implicit-def: $vgpr116
                                        ; implicit-def: $vgpr118
                                        ; implicit-def: $vgpr120
                                        ; implicit-def: $vgpr92
                                        ; implicit-def: $vgpr79
                                        ; implicit-def: $vgpr98
                                        ; implicit-def: $vgpr73
                                        ; implicit-def: $vgpr65
                                        ; implicit-def: $vgpr61
                                        ; implicit-def: $vgpr55
                                        ; implicit-def: $vgpr83
                                        ; implicit-def: $vgpr69
                                        ; implicit-def: $vgpr114
                                        ; implicit-def: $vgpr110
                                        ; implicit-def: $vgpr108
	s_and_saveexec_b32 s1, vcc_lo
	s_cbranch_execz .LBB0_10
; %bb.9:
	v_mov_b32_e32 v27, 0
	v_add_co_u32 v11, s0, s2, v24
	v_add_co_ci_u32_e64 v12, s0, s3, v25, s0
	v_lshlrev_b64 v[0:1], 3, v[26:27]
	v_or_b32_e32 v2, 0x220, v26
	v_mov_b32_e32 v3, v27
	v_add_co_u32 v5, s0, v11, v0
	v_add_co_ci_u32_e64 v6, s0, v12, v1, s0
	v_lshlrev_b64 v[0:1], 3, v[2:3]
	v_add_co_u32 v7, s0, 0x800, v5
	v_add_co_ci_u32_e64 v8, s0, 0, v6, s0
	v_add_co_u32 v9, s0, 0x1000, v5
	v_add_co_ci_u32_e64 v10, s0, 0, v6, s0
	v_add_co_u32 v11, s0, v11, v0
	s_clause 0x1
	global_load_dwordx2 v[70:71], v[5:6], off offset:952
	global_load_dwordx2 v[78:79], v[7:8], off offset:1624
	v_add_co_ci_u32_e64 v12, s0, v12, v1, s0
	s_clause 0x20
	global_load_dwordx2 v[101:102], v[5:6], off
	global_load_dwordx2 v[85:86], v[5:6], off offset:136
	global_load_dwordx2 v[66:67], v[5:6], off offset:272
	;; [unrolled: 1-line block ×30, first 2 shown]
	global_load_dwordx2 v[97:98], v[11:12], off
	global_load_dwordx2 v[64:65], v[9:10], off offset:528
.LBB0_10:
	s_or_b32 exec_lo, exec_lo, s1
	v_mul_hi_u32 v5, 0xaaaaaaab, v4
	s_waitcnt vmcnt(2)
	v_add_f32_e32 v6, v82, v56
	v_add_f32_e32 v7, v68, v58
	;; [unrolled: 1-line block ×3, first 2 shown]
	v_sub_f32_e32 v9, v59, v69
	v_sub_f32_e32 v10, v63, v73
	;; [unrolled: 1-line block ×3, first 2 shown]
	v_add_f32_e32 v13, v6, v7
	v_lshrrev_b32_e32 v5, 1, v5
	v_sub_f32_e32 v14, v7, v6
	v_sub_f32_e32 v6, v6, v8
	;; [unrolled: 1-line block ×3, first 2 shown]
	v_add_f32_e32 v15, v9, v10
	v_lshl_add_u32 v5, v5, 1, v5
	v_sub_f32_e32 v16, v10, v9
	v_sub_f32_e32 v9, v9, v11
	;; [unrolled: 1-line block ×3, first 2 shown]
	v_mul_f32_e32 v7, 0x3d64c772, v7
	v_sub_nc_u32_e32 v4, v4, v5
	v_add_f32_e32 v5, v13, v8
	v_add_f32_e32 v8, v11, v15
	v_mul_f32_e32 v11, 0x3f4a47b2, v6
	v_mul_f32_e32 v13, 0x3f08b237, v16
	v_mul_u32_u24_e32 v4, 0x253, v4
	v_mul_f32_e32 v15, 0xbf5ff5aa, v9
	v_add_f32_e32 v16, v5, v50
	v_fma_f32 v11, 0xbf3bfb3b, v14, -v11
	v_fma_f32 v14, 0x3f3bfb3b, v14, -v7
	v_lshlrev_b32_e32 v122, 2, v4
	v_fma_f32 v4, 0xbf5ff5aa, v9, -v13
	v_fma_f32 v9, 0x3eae86e6, v10, -v15
	v_fmamk_f32 v5, v5, 0xbf955555, v16
	s_waitcnt vmcnt(1)
	v_add_f32_e32 v12, v97, v70
	v_add_nc_u32_e32 v123, 0, v122
	v_fmac_f32_e32 v4, 0xbee1c552, v8
	v_fmac_f32_e32 v9, 0xbee1c552, v8
	v_add_f32_e32 v11, v11, v5
	v_add_f32_e32 v14, v14, v5
	v_mad_u32_u24 v50, v26, 28, v123
	v_add_f32_e32 v15, v78, v74
	v_add_f32_e32 v17, v91, v76
	;; [unrolled: 1-line block ×3, first 2 shown]
	v_sub_f32_e32 v19, v14, v4
	v_add_nc_u32_e32 v20, 0x59c, v50
	v_add_f32_e32 v21, v12, v15
	v_add_f32_e32 v4, v14, v4
	v_fmamk_f32 v6, v6, 0x3f4a47b2, v7
	v_sub_f32_e32 v7, v75, v79
	ds_write2_b32 v20, v18, v19 offset1:1
	v_add_f32_e32 v18, v21, v17
	v_sub_f32_e32 v19, v17, v15
	v_sub_f32_e32 v17, v12, v17
	;; [unrolled: 1-line block ×4, first 2 shown]
	v_add_f32_e32 v22, v18, v66
	v_mul_f32_e32 v19, 0x3d64c772, v19
	v_add_nc_u32_e32 v11, 0x5a4, v50
	v_sub_f32_e32 v20, v71, v98
	v_sub_f32_e32 v21, v14, v7
	v_fmamk_f32 v18, v18, 0xbf955555, v22
	v_fmamk_f32 v27, v17, 0x3f4a47b2, v19
	;; [unrolled: 1-line block ×3, first 2 shown]
	v_add_f32_e32 v5, v6, v5
	v_add_f32_e32 v28, v117, v111
	;; [unrolled: 1-line block ×5, first 2 shown]
	v_sub_f32_e32 v14, v20, v14
	v_mul_f32_e32 v21, 0x3f08b237, v21
	v_fmac_f32_e32 v10, 0xbee1c552, v8
	ds_write2_b32 v11, v4, v9 offset1:1
	v_add_f32_e32 v4, v115, v105
	v_add_f32_e32 v8, v27, v28
	v_sub_f32_e32 v29, v112, v118
	v_sub_f32_e32 v30, v106, v116
	v_add_f32_e32 v13, v20, v23
	v_fmamk_f32 v23, v14, 0xbeae86e6, v21
	v_add_f32_e32 v8, v8, v4
	v_sub_f32_e32 v31, v4, v28
	v_sub_f32_e32 v32, v104, v120
	;; [unrolled: 1-line block ×3, first 2 shown]
	v_fmac_f32_e32 v23, 0xbee1c552, v13
	v_sub_f32_e32 v4, v27, v4
	v_add_f32_e32 v34, v8, v101
	v_mul_f32_e32 v31, 0x3d64c772, v31
	v_add_f32_e32 v35, v29, v30
	v_sub_f32_e32 v30, v32, v30
	v_mul_f32_e32 v33, 0x3f08b237, v33
	v_sub_f32_e32 v9, v6, v23
	v_sub_f32_e32 v11, v5, v10
	v_fmamk_f32 v8, v8, 0xbf955555, v34
	v_fmamk_f32 v36, v4, 0x3f4a47b2, v31
	v_add_nc_u32_e32 v37, 0x200, v50
	v_add_f32_e32 v35, v32, v35
	v_fmamk_f32 v38, v30, 0xbeae86e6, v33
	v_sub_f32_e32 v29, v29, v32
	v_sub_f32_e32 v27, v28, v27
	v_mul_f32_e32 v4, 0x3f4a47b2, v4
	v_add_f32_e32 v32, v36, v8
	v_fmac_f32_e32 v38, 0xbee1c552, v35
	v_mul_f32_e32 v28, 0xbf5ff5aa, v29
	ds_write2_b32 v37, v9, v11 offset0:116 offset1:235
	v_fma_f32 v9, 0x3f3bfb3b, v27, -v31
	v_fma_f32 v4, 0xbf3bfb3b, v27, -v4
	v_add_f32_e32 v11, v32, v38
	v_fma_f32 v27, 0x3eae86e6, v30, -v28
	v_fma_f32 v28, 0xbf5ff5aa, v29, -v33
	v_add_f32_e32 v9, v9, v8
	v_add_f32_e32 v4, v4, v8
	;; [unrolled: 1-line block ×4, first 2 shown]
	v_fmac_f32_e32 v27, 0xbee1c552, v35
	v_fmac_f32_e32 v28, 0xbee1c552, v35
	ds_write2_b32 v50, v34, v11 offset1:1
	v_add_f32_e32 v11, v107, v93
	v_add_f32_e32 v30, v8, v29
	v_sub_f32_e32 v34, v100, v110
	v_sub_f32_e32 v35, v94, v108
	;; [unrolled: 1-line block ×4, first 2 shown]
	v_add_f32_e32 v30, v30, v11
	v_sub_f32_e32 v11, v11, v29
	v_sub_f32_e32 v41, v35, v34
	v_add_f32_e32 v39, v34, v35
	v_sub_f32_e32 v35, v37, v35
	v_add_f32_e32 v40, v30, v85
	v_mul_f32_e32 v11, 0x3d64c772, v11
	v_mul_f32_e32 v41, 0x3f08b237, v41
	v_add_f32_e32 v39, v37, v39
	v_sub_f32_e32 v34, v34, v37
	v_fmamk_f32 v30, v30, 0xbf955555, v40
	v_fmamk_f32 v37, v36, 0x3f4a47b2, v11
	;; [unrolled: 1-line block ×3, first 2 shown]
	v_sub_f32_e32 v8, v29, v8
	v_add_f32_e32 v31, v4, v27
	v_sub_f32_e32 v33, v9, v28
	v_add_f32_e32 v37, v37, v30
	v_fmac_f32_e32 v42, 0xbee1c552, v39
	v_mul_f32_e32 v29, 0x3f4a47b2, v36
	v_mul_f32_e32 v36, 0xbf5ff5aa, v34
	v_fma_f32 v11, 0x3f3bfb3b, v8, -v11
	v_fma_f32 v34, 0xbf5ff5aa, v34, -v41
	v_add_f32_e32 v9, v9, v28
	v_sub_f32_e32 v4, v4, v27
	v_add_f32_e32 v27, v37, v42
	v_fma_f32 v8, 0xbf3bfb3b, v8, -v29
	v_add_f32_e32 v11, v11, v30
	v_fmac_f32_e32 v34, 0xbee1c552, v39
	ds_write2_b32 v50, v31, v33 offset0:2 offset1:3
	ds_write2_b32 v50, v9, v4 offset0:4 offset1:5
	;; [unrolled: 1-line block ×3, first 2 shown]
	v_sub_f32_e32 v4, v7, v20
	v_fma_f32 v29, 0x3eae86e6, v35, -v36
	v_add_f32_e32 v8, v8, v30
	v_sub_f32_e32 v30, v11, v34
	v_add_f32_e32 v7, v11, v34
	v_sub_f32_e32 v9, v15, v12
	v_mul_f32_e32 v11, 0x3f4a47b2, v17
	v_mul_f32_e32 v12, 0xbf5ff5aa, v4
	v_fmac_f32_e32 v29, 0xbee1c552, v39
	v_fma_f32 v4, 0xbf5ff5aa, v4, -v21
	v_fma_f32 v17, 0x3f3bfb3b, v9, -v19
	;; [unrolled: 1-line block ×4, first 2 shown]
	v_add_f32_e32 v28, v8, v29
	v_sub_f32_e32 v8, v8, v29
	v_add_f32_e32 v14, v17, v18
	v_add_f32_e32 v9, v9, v18
	v_fmac_f32_e32 v11, 0xbee1c552, v13
	v_fmac_f32_e32 v4, 0xbee1c552, v13
	v_add_f32_e32 v6, v6, v23
	v_sub_f32_e32 v15, v32, v38
	v_sub_f32_e32 v12, v37, v42
	ds_write2_b32 v50, v28, v30 offset0:121 offset1:122
	ds_write2_b32 v50, v7, v8 offset0:123 offset1:124
	ds_write2_b32 v50, v15, v12 offset0:6 offset1:125
	v_add_f32_e32 v7, v9, v11
	v_sub_f32_e32 v8, v14, v4
	v_sub_f32_e32 v9, v9, v11
	ds_write2_b32 v50, v22, v6 offset0:238 offset1:239
	s_waitcnt vmcnt(0)
	v_add_f32_e32 v6, v64, v2
	v_add_f32_e32 v11, v60, v48
	;; [unrolled: 1-line block ×3, first 2 shown]
	ds_write2_b32 v50, v7, v8 offset0:240 offset1:241
	ds_write2_b32 v50, v4, v9 offset0:242 offset1:243
	v_add_f32_e32 v4, v5, v10
	v_add_f32_e32 v5, v54, v52
	;; [unrolled: 1-line block ×3, first 2 shown]
	v_sub_f32_e32 v9, v49, v61
	v_sub_f32_e32 v10, v53, v55
	;; [unrolled: 1-line block ×4, first 2 shown]
	v_add_f32_e32 v7, v7, v5
	v_sub_f32_e32 v6, v6, v5
	v_sub_f32_e32 v5, v5, v11
	v_add_f32_e32 v11, v9, v10
	v_sub_f32_e32 v13, v10, v9
	v_sub_f32_e32 v9, v9, v12
	v_add_f32_e32 v0, v7, v0
	v_sub_f32_e32 v10, v12, v10
	v_mul_f32_e32 v5, 0x3d64c772, v5
	v_mul_f32_e32 v14, 0x3f4a47b2, v6
	;; [unrolled: 1-line block ×4, first 2 shown]
	v_fmamk_f32 v7, v7, 0xbf955555, v0
	v_fmamk_f32 v6, v6, 0x3f4a47b2, v5
	v_add_f32_e32 v11, v12, v11
	v_fma_f32 v12, 0xbf3bfb3b, v8, -v14
	v_fma_f32 v14, 0x3eae86e6, v10, -v15
	v_fmamk_f32 v10, v10, 0xbeae86e6, v13
	v_fma_f32 v5, 0x3f3bfb3b, v8, -v5
	v_fma_f32 v8, 0xbf5ff5aa, v9, -v13
	v_lshlrev_b32_e32 v27, 2, v26
	v_add_f32_e32 v6, v6, v7
	v_add_f32_e32 v9, v12, v7
	v_fmac_f32_e32 v10, 0xbee1c552, v11
	v_fmac_f32_e32 v14, 0xbee1c552, v11
	v_add_f32_e32 v5, v5, v7
	v_fmac_f32_e32 v8, 0xbee1c552, v11
	v_add_nc_u32_e32 v66, 0x594, v50
	v_add3_u32 v121, 0, v27, v122
	v_add_nc_u32_e32 v101, v123, v27
	v_add_f32_e32 v7, v6, v10
	v_add_f32_e32 v11, v9, v14
	v_add_nc_u32_e32 v12, 0x774, v50
	v_sub_f32_e32 v13, v5, v8
	v_add_f32_e32 v5, v5, v8
	v_add_nc_u32_e32 v8, 0x77c, v50
	ds_write2_b32 v66, v16, v4 offset1:1
	v_sub_f32_e32 v9, v9, v14
	v_sub_f32_e32 v4, v6, v10
	v_add_nc_u32_e32 v6, 0x784, v50
	ds_write_b32 v50, v0 offset:1904
	ds_write2_b32 v12, v7, v11 offset1:1
	ds_write2_b32 v8, v13, v5 offset1:1
	;; [unrolled: 1-line block ×3, first 2 shown]
	s_waitcnt lgkmcnt(0)
	s_barrier
	buffer_gl0_inv
	v_add_nc_u32_e32 v124, 0x400, v121
	v_add_nc_u32_e32 v125, 0x600, v121
	;; [unrolled: 1-line block ×3, first 2 shown]
	ds_read_b32 v134, v101
	ds_read_b32 v135, v121 offset:2308
	ds_read2_b32 v[6:7], v121 offset0:17 offset1:35
	ds_read2_b32 v[14:15], v121 offset0:52 offset1:70
	;; [unrolled: 1-line block ×16, first 2 shown]
	v_cmp_eq_u32_e64 s0, 0, v26
	v_add_nc_u32_e32 v129, 0x1dc, v50
	v_add_nc_u32_e32 v128, 0x3b8, v50
	;; [unrolled: 1-line block ×3, first 2 shown]
                                        ; implicit-def: $vgpr136
                                        ; implicit-def: $vgpr16
                                        ; implicit-def: $vgpr12
                                        ; implicit-def: $vgpr22
                                        ; implicit-def: $vgpr20
                                        ; implicit-def: $vgpr11
                                        ; implicit-def: $vgpr19
                                        ; implicit-def: $vgpr29
	s_and_saveexec_b32 s1, s0
	s_cbranch_execz .LBB0_12
; %bb.11:
	v_add_nc_u32_e32 v0, 0x200, v123
	v_add_nc_u32_e32 v10, 0x400, v123
	v_add_nc_u32_e32 v11, 0x800, v123
	ds_read2_b32 v[4:5], v123 offset0:34 offset1:69
	ds_read2_b32 v[16:17], v123 offset0:104 offset1:139
	;; [unrolled: 1-line block ×8, first 2 shown]
	ds_read_b32 v136, v123 offset:2376
.LBB0_12:
	s_or_b32 exec_lo, exec_lo, s1
	v_add_f32_e32 v0, v120, v104
	v_add_f32_e32 v104, v118, v112
	v_sub_f32_e32 v103, v103, v119
	v_add_f32_e32 v106, v116, v106
	v_sub_f32_e32 v111, v111, v117
	v_sub_f32_e32 v105, v105, v115
	v_add_f32_e32 v112, v0, v104
	v_add_f32_e32 v96, v114, v96
	;; [unrolled: 1-line block ×3, first 2 shown]
	v_sub_f32_e32 v115, v104, v0
	v_sub_f32_e32 v0, v0, v106
	;; [unrolled: 1-line block ×3, first 2 shown]
	v_add_f32_e32 v116, v111, v105
	v_add_f32_e32 v106, v112, v106
	v_sub_f32_e32 v112, v105, v111
	v_sub_f32_e32 v111, v111, v103
	v_sub_f32_e32 v95, v95, v113
	v_add_f32_e32 v94, v108, v94
	v_sub_f32_e32 v99, v99, v109
	v_sub_f32_e32 v93, v93, v107
	v_add_f32_e32 v107, v96, v100
	v_sub_f32_e32 v105, v103, v105
	v_add_f32_e32 v103, v103, v116
	v_add_f32_e32 v102, v106, v102
	v_mul_f32_e32 v104, 0x3d64c772, v104
	v_mul_f32_e32 v116, 0x3f4a47b2, v0
	;; [unrolled: 1-line block ×4, first 2 shown]
	v_sub_f32_e32 v108, v100, v96
	v_sub_f32_e32 v96, v96, v94
	;; [unrolled: 1-line block ×3, first 2 shown]
	v_add_f32_e32 v109, v99, v93
	v_add_f32_e32 v94, v107, v94
	v_sub_f32_e32 v107, v93, v99
	v_sub_f32_e32 v99, v99, v95
	v_fmamk_f32 v106, v106, 0xbf955555, v102
	v_fmamk_f32 v0, v0, 0x3f4a47b2, v104
	v_fma_f32 v104, 0x3f3bfb3b, v115, -v104
	v_fma_f32 v115, 0xbf3bfb3b, v115, -v116
	v_fmamk_f32 v116, v105, 0xbeae86e6, v112
	v_fma_f32 v105, 0x3eae86e6, v105, -v117
	v_sub_f32_e32 v93, v95, v93
	v_add_f32_e32 v95, v95, v109
	v_mul_f32_e32 v100, 0x3d64c772, v100
	v_mul_f32_e32 v109, 0x3f4a47b2, v96
	;; [unrolled: 1-line block ×4, first 2 shown]
	v_fma_f32 v111, 0xbf5ff5aa, v111, -v112
	v_add_f32_e32 v0, v0, v106
	v_add_f32_e32 v104, v104, v106
	v_add_f32_e32 v106, v115, v106
	v_fmac_f32_e32 v116, 0xbee1c552, v103
	v_fmac_f32_e32 v105, 0xbee1c552, v103
	v_fmamk_f32 v96, v96, 0x3f4a47b2, v100
	v_fma_f32 v100, 0x3f3bfb3b, v108, -v100
	v_fma_f32 v108, 0xbf3bfb3b, v108, -v109
	v_fmamk_f32 v109, v93, 0xbeae86e6, v107
	v_fma_f32 v99, 0xbf5ff5aa, v99, -v107
	v_fma_f32 v93, 0x3eae86e6, v93, -v110
	v_fmac_f32_e32 v111, 0xbee1c552, v103
	v_sub_f32_e32 v103, v0, v116
	v_sub_f32_e32 v112, v106, v105
	v_fmac_f32_e32 v109, 0xbee1c552, v95
	v_fmac_f32_e32 v93, 0xbee1c552, v95
	;; [unrolled: 1-line block ×3, first 2 shown]
	v_add_f32_e32 v95, v105, v106
	v_add_f32_e32 v105, v116, v0
	;; [unrolled: 1-line block ×5, first 2 shown]
	v_sub_f32_e32 v74, v74, v78
	v_sub_f32_e32 v76, v76, v91
	;; [unrolled: 1-line block ×3, first 2 shown]
	v_add_f32_e32 v77, v0, v71
	v_sub_f32_e32 v78, v71, v0
	v_sub_f32_e32 v0, v0, v75
	;; [unrolled: 1-line block ×3, first 2 shown]
	v_add_f32_e32 v79, v74, v76
	v_add_f32_e32 v75, v77, v75
	v_sub_f32_e32 v77, v76, v74
	v_add_f32_e32 v57, v83, v57
	v_add_f32_e32 v59, v69, v59
	v_sub_f32_e32 v76, v70, v76
	v_sub_f32_e32 v74, v74, v70
	v_add_f32_e32 v70, v70, v79
	v_add_f32_e32 v67, v75, v67
	v_mul_f32_e32 v71, 0x3d64c772, v71
	v_mul_f32_e32 v79, 0x3f4a47b2, v0
	;; [unrolled: 1-line block ×3, first 2 shown]
	v_add_f32_e32 v63, v73, v63
	v_sub_f32_e32 v58, v58, v68
	v_sub_f32_e32 v62, v62, v72
	v_add_f32_e32 v68, v57, v59
	v_fmamk_f32 v75, v75, 0xbf955555, v67
	v_fmamk_f32 v0, v0, 0x3f4a47b2, v71
	v_fma_f32 v71, 0x3f3bfb3b, v78, -v71
	v_fma_f32 v78, 0xbf3bfb3b, v78, -v79
	v_fmamk_f32 v79, v76, 0xbeae86e6, v77
	v_sub_f32_e32 v56, v56, v82
	v_sub_f32_e32 v69, v59, v57
	;; [unrolled: 1-line block ×4, first 2 shown]
	v_add_f32_e32 v72, v58, v62
	v_add_f32_e32 v63, v68, v63
	v_sub_f32_e32 v68, v62, v58
	v_add_f32_e32 v0, v0, v75
	v_fmac_f32_e32 v79, 0xbee1c552, v70
	v_sub_f32_e32 v62, v56, v62
	v_sub_f32_e32 v58, v58, v56
	v_add_f32_e32 v56, v56, v72
	v_mul_f32_e32 v59, 0x3d64c772, v59
	v_mul_f32_e32 v72, 0x3f4a47b2, v57
	;; [unrolled: 1-line block ×3, first 2 shown]
	v_add_f32_e32 v71, v71, v75
	v_add_f32_e32 v75, v78, v75
	v_sub_f32_e32 v78, v0, v79
	v_add_f32_e32 v51, v63, v51
	v_mul_f32_e32 v73, 0xbf5ff5aa, v58
	v_fmamk_f32 v57, v57, 0x3f4a47b2, v59
	v_fma_f32 v59, 0x3f3bfb3b, v69, -v59
	v_fma_f32 v69, 0xbf3bfb3b, v69, -v72
	v_fmamk_f32 v72, v62, 0xbeae86e6, v68
	v_fma_f32 v58, 0xbf5ff5aa, v58, -v68
	v_add_f32_e32 v68, v79, v0
	v_add_f32_e32 v0, v65, v3
	;; [unrolled: 1-line block ×3, first 2 shown]
	v_mul_f32_e32 v91, 0xbf5ff5aa, v74
	v_fma_f32 v74, 0xbf5ff5aa, v74, -v77
	v_fmamk_f32 v63, v63, 0xbf955555, v51
	v_sub_f32_e32 v2, v2, v64
	v_add_f32_e32 v49, v55, v53
	v_sub_f32_e32 v48, v48, v60
	v_sub_f32_e32 v52, v52, v54
	v_add_f32_e32 v53, v0, v3
	v_fmac_f32_e32 v74, 0xbee1c552, v70
	v_add_f32_e32 v59, v59, v63
	v_fmac_f32_e32 v58, 0xbee1c552, v56
	v_sub_f32_e32 v54, v3, v0
	v_sub_f32_e32 v0, v0, v49
	;; [unrolled: 1-line block ×3, first 2 shown]
	v_add_f32_e32 v55, v48, v52
	v_add_f32_e32 v49, v53, v49
	v_sub_f32_e32 v53, v52, v48
	v_sub_f32_e32 v48, v48, v2
	v_add_f32_e32 v86, v94, v86
	v_add_f32_e32 v92, v74, v71
	v_sub_f32_e32 v71, v71, v74
	v_add_f32_e32 v74, v58, v59
	v_sub_f32_e32 v58, v59, v58
	v_sub_f32_e32 v52, v2, v52
	v_add_f32_e32 v2, v2, v55
	v_add_f32_e32 v1, v49, v1
	v_mul_f32_e32 v3, 0x3d64c772, v3
	v_mul_f32_e32 v55, 0x3f4a47b2, v0
	;; [unrolled: 1-line block ×4, first 2 shown]
	v_fmamk_f32 v94, v94, 0xbf955555, v86
	v_fma_f32 v76, 0x3eae86e6, v76, -v91
	v_fma_f32 v62, 0x3eae86e6, v62, -v73
	v_fmamk_f32 v49, v49, 0xbf955555, v1
	v_fmamk_f32 v0, v0, 0x3f4a47b2, v3
	v_fma_f32 v3, 0x3f3bfb3b, v54, -v3
	v_fma_f32 v54, 0xbf3bfb3b, v54, -v55
	v_fmamk_f32 v55, v52, 0xbeae86e6, v53
	v_fma_f32 v48, 0xbf5ff5aa, v48, -v53
	v_fma_f32 v52, 0x3eae86e6, v52, -v59
	v_add_f32_e32 v96, v96, v94
	v_add_f32_e32 v100, v100, v94
	;; [unrolled: 1-line block ×3, first 2 shown]
	v_fmac_f32_e32 v76, 0xbee1c552, v70
	v_add_f32_e32 v57, v57, v63
	v_add_f32_e32 v63, v69, v63
	v_fmac_f32_e32 v72, 0xbee1c552, v56
	v_fmac_f32_e32 v62, 0xbee1c552, v56
	v_add_f32_e32 v0, v0, v49
	v_add_f32_e32 v3, v3, v49
	v_add_f32_e32 v49, v54, v49
	v_fmac_f32_e32 v52, 0xbee1c552, v2
	v_fmac_f32_e32 v48, 0xbee1c552, v2
	;; [unrolled: 1-line block ×3, first 2 shown]
	v_add_f32_e32 v115, v111, v104
	v_sub_f32_e32 v104, v104, v111
	v_sub_f32_e32 v106, v96, v109
	v_add_f32_e32 v108, v99, v100
	v_sub_f32_e32 v99, v100, v99
	v_add_f32_e32 v70, v93, v94
	v_add_f32_e32 v77, v109, v96
	v_sub_f32_e32 v91, v75, v76
	v_sub_f32_e32 v69, v57, v72
	;; [unrolled: 1-line block ×3, first 2 shown]
	v_add_f32_e32 v2, v62, v63
	v_add_f32_e32 v59, v48, v3
	v_sub_f32_e32 v3, v3, v48
	v_add_f32_e32 v48, v52, v49
	v_sub_f32_e32 v107, v94, v93
	v_add_f32_e32 v56, v76, v75
	v_add_f32_e32 v53, v72, v57
	v_sub_f32_e32 v54, v0, v55
	v_sub_f32_e32 v57, v49, v52
	v_add_f32_e32 v0, v55, v0
	s_waitcnt lgkmcnt(0)
	s_barrier
	buffer_gl0_inv
	ds_write2_b32 v50, v102, v103 offset1:1
	ds_write2_b32 v50, v112, v115 offset0:2 offset1:3
	ds_write2_b32 v50, v104, v95 offset0:4 offset1:5
	ds_write_b32 v50, v105 offset:24
	ds_write2_b32 v129, v86, v106 offset1:1
	ds_write2_b32 v129, v107, v108 offset0:2 offset1:3
	ds_write2_b32 v129, v99, v70 offset0:4 offset1:5
	ds_write_b32 v129, v77 offset:24
	;; [unrolled: 4-line block ×4, first 2 shown]
	ds_write_b32 v127, v1
	ds_write2_b32 v127, v54, v57 offset0:1 offset1:2
	ds_write2_b32 v127, v59, v3 offset0:3 offset1:4
	ds_write2_b32 v127, v48, v0 offset0:5 offset1:6
	s_waitcnt lgkmcnt(0)
	s_barrier
	buffer_gl0_inv
	ds_read2_b32 v[2:3], v121 offset0:17 offset1:35
	ds_read2_b32 v[50:51], v121 offset0:52 offset1:70
	;; [unrolled: 1-line block ×16, first 2 shown]
	ds_read_b32 v104, v101
	ds_read_b32 v138, v121 offset:2308
                                        ; implicit-def: $vgpr54
                                        ; implicit-def: $vgpr52
                                        ; implicit-def: $vgpr62
                                        ; implicit-def: $vgpr60
                                        ; implicit-def: $vgpr137
                                        ; implicit-def: $vgpr57
                                        ; implicit-def: $vgpr59
                                        ; implicit-def: $vgpr65
	s_and_saveexec_b32 s1, s0
	s_cbranch_execz .LBB0_14
; %bb.13:
	v_add_nc_u32_e32 v56, 0x200, v123
	v_add_nc_u32_e32 v57, 0x400, v123
	;; [unrolled: 1-line block ×3, first 2 shown]
	ds_read2_b32 v[0:1], v123 offset0:34 offset1:69
	ds_read2_b32 v[54:55], v123 offset0:104 offset1:139
	;; [unrolled: 1-line block ×8, first 2 shown]
	ds_read_b32 v137, v123 offset:2376
.LBB0_14:
	s_or_b32 exec_lo, exec_lo, s1
	v_and_b32_e32 v86, 0xff, v26
	v_add_nc_u32_e32 v102, 17, v26
	v_mul_lo_u16 v86, v86, 37
	v_and_b32_e32 v103, 0xff, v102
	v_lshrrev_b16 v86, 8, v86
	v_mul_lo_u16 v103, v103, 37
	v_sub_nc_u16 v105, v26, v86
	v_lshrrev_b16 v103, 8, v103
	v_lshrrev_b16 v105, 1, v105
	v_sub_nc_u16 v106, v102, v103
	v_and_b32_e32 v105, 0x7f, v105
	v_add_nc_u16 v86, v105, v86
	v_lshrrev_b16 v105, 1, v106
	v_mov_b32_e32 v106, 7
	v_lshrrev_b16 v132, 2, v86
	v_and_b32_e32 v86, 0x7f, v105
	v_mul_lo_u16 v105, v132, 7
	v_add_nc_u16 v86, v86, v103
	v_sub_nc_u16 v133, v26, v105
	v_lshrrev_b16 v130, 2, v86
	v_lshlrev_b32_sdwa v103, v106, v133 dst_sel:DWORD dst_unused:UNUSED_PAD src0_sel:DWORD src1_sel:BYTE_0
	v_mul_lo_u16 v86, v130, 7
	v_and_b32_e32 v130, 0xffff, v130
	s_clause 0x1
	global_load_dwordx4 v[107:110], v103, s[8:9] offset:16
	global_load_dwordx4 v[114:117], v103, s[8:9] offset:32
	v_sub_nc_u16 v131, v102, v86
	v_add_nc_u32_e32 v86, 34, v26
	v_mad_u32_u24 v130, 0x1dc, v130, 0
	v_lshlrev_b32_sdwa v105, v106, v131 dst_sel:DWORD dst_unused:UNUSED_PAD src0_sel:DWORD src1_sel:BYTE_0
	v_and_b32_e32 v111, 0xff, v86
	s_clause 0x3
	global_load_dwordx4 v[123:126], v105, s[8:9] offset:16
	global_load_dwordx4 v[139:142], v105, s[8:9] offset:32
	;; [unrolled: 1-line block ×4, first 2 shown]
	v_mul_lo_u16 v111, v111, 37
	s_clause 0x3
	global_load_dwordx4 v[151:154], v103, s[8:9] offset:64
	global_load_dwordx4 v[171:174], v103, s[8:9]
	global_load_dwordx4 v[155:158], v103, s[8:9] offset:80
	global_load_dwordx4 v[159:162], v103, s[8:9] offset:96
	v_lshrrev_b16 v111, 8, v111
	s_clause 0x5
	global_load_dwordx4 v[163:166], v103, s[8:9] offset:112
	global_load_dwordx4 v[167:170], v105, s[8:9] offset:64
	;; [unrolled: 1-line block ×3, first 2 shown]
	global_load_dwordx4 v[179:182], v105, s[8:9]
	global_load_dwordx4 v[183:186], v105, s[8:9] offset:96
	global_load_dwordx4 v[187:190], v105, s[8:9] offset:112
	v_sub_nc_u16 v112, v86, v111
	v_lshrrev_b16 v112, 1, v112
	v_and_b32_e32 v112, 0x7f, v112
	v_add_nc_u16 v111, v112, v111
	v_lshrrev_b16 v111, 2, v111
	v_mul_lo_u16 v111, v111, 7
	v_sub_nc_u16 v103, v86, v111
	v_lshlrev_b32_sdwa v111, v106, v103 dst_sel:DWORD dst_unused:UNUSED_PAD src0_sel:DWORD src1_sel:BYTE_0
	s_clause 0x3
	global_load_dwordx4 v[191:194], v111, s[8:9]
	global_load_dwordx4 v[195:198], v111, s[8:9] offset:16
	global_load_dwordx4 v[199:202], v111, s[8:9] offset:32
	;; [unrolled: 1-line block ×3, first 2 shown]
	s_waitcnt vmcnt(19) lgkmcnt(15)
	v_mul_f32_e32 v112, v67, v108
	v_mul_f32_e32 v113, v31, v108
	s_waitcnt lgkmcnt(14)
	v_mul_f32_e32 v108, v100, v110
	v_mul_f32_e32 v110, v90, v110
	s_waitcnt vmcnt(18) lgkmcnt(13)
	v_mul_f32_e32 v106, v98, v115
	s_waitcnt lgkmcnt(12)
	v_mul_f32_e32 v105, v96, v117
	v_mul_f32_e32 v117, v85, v117
	v_fmac_f32_e32 v112, v31, v107
	v_mul_f32_e32 v115, v88, v115
	s_waitcnt vmcnt(17)
	v_mul_f32_e32 v31, v89, v124
	v_fma_f32 v113, v67, v107, -v113
	v_fmac_f32_e32 v108, v90, v109
	v_fma_f32 v109, v100, v109, -v110
	v_mul_f32_e32 v90, v99, v124
	v_fmac_f32_e32 v106, v88, v114
	v_fmac_f32_e32 v105, v85, v116
	v_fma_f32 v100, v96, v116, -v117
	v_mul_f32_e32 v88, v97, v126
	v_mul_f32_e32 v67, v87, v126
	s_waitcnt vmcnt(16)
	v_mul_f32_e32 v85, v95, v140
	v_fma_f32 v96, v99, v123, -v31
	v_mul_f32_e32 v31, v84, v140
	v_fma_f32 v107, v98, v114, -v115
	v_fmac_f32_e32 v90, v89, v123
	v_fmac_f32_e32 v88, v87, v125
	v_fma_f32 v89, v97, v125, -v67
	s_waitcnt vmcnt(15) lgkmcnt(11)
	v_mul_f32_e32 v98, v94, v144
	v_mul_f32_e32 v67, v81, v144
	v_fmac_f32_e32 v85, v84, v139
	s_waitcnt lgkmcnt(10)
	v_mul_f32_e32 v97, v92, v146
	v_mul_f32_e32 v84, v93, v142
	v_fma_f32 v87, v95, v139, -v31
	v_mul_f32_e32 v31, v80, v142
	v_mul_f32_e32 v95, v47, v146
	v_fmac_f32_e32 v98, v81, v143
	v_fma_f32 v94, v94, v143, -v67
	v_fmac_f32_e32 v84, v80, v141
	v_fma_f32 v81, v93, v141, -v31
	s_clause 0x1
	global_load_dwordx4 v[139:142], v111, s[8:9] offset:64
	global_load_dwordx4 v[207:210], v111, s[8:9] offset:80
	v_fmac_f32_e32 v97, v47, v145
	v_fma_f32 v92, v92, v145, -v95
	s_waitcnt vmcnt(16)
	v_mul_f32_e32 v47, v91, v148
	v_mul_f32_e32 v67, v46, v148
	s_waitcnt lgkmcnt(9)
	v_mul_f32_e32 v31, v82, v150
	v_mul_f32_e32 v80, v44, v150
	global_load_dwordx4 v[143:146], v111, s[8:9] offset:96
	v_fmac_f32_e32 v47, v46, v147
	v_fma_f32 v46, v91, v147, -v67
	v_fmac_f32_e32 v31, v44, v149
	v_fma_f32 v44, v82, v149, -v80
	global_load_dwordx4 v[147:150], v111, s[8:9] offset:112
	s_waitcnt vmcnt(17)
	v_mul_f32_e32 v82, v83, v152
	s_waitcnt vmcnt(15) lgkmcnt(6)
	v_mul_f32_e32 v114, v75, v158
	s_waitcnt vmcnt(14) lgkmcnt(5)
	;; [unrolled: 2-line block ×3, first 2 shown]
	v_mul_f32_e32 v124, v69, v164
	v_mul_f32_e32 v95, v79, v154
	v_fmac_f32_e32 v82, v45, v151
	v_mul_f32_e32 v45, v45, v152
	v_fmac_f32_e32 v114, v39, v157
	v_mul_f32_e32 v110, v77, v156
	v_mul_f32_e32 v118, v71, v162
	v_fmac_f32_e32 v116, v37, v159
	v_fma_f32 v91, v83, v151, -v45
	v_mul_f32_e32 v45, v43, v154
	v_fmac_f32_e32 v124, v33, v163
	v_mul_f32_e32 v128, v3, v172
	v_fmac_f32_e32 v95, v43, v153
	v_mul_f32_e32 v43, v41, v156
	v_fma_f32 v99, v79, v153, -v45
	v_mul_f32_e32 v45, v39, v158
	v_mul_f32_e32 v39, v37, v160
	v_mul_f32_e32 v37, v33, v164
	s_waitcnt vmcnt(12)
	v_mul_f32_e32 v33, v42, v168
	v_fmac_f32_e32 v110, v41, v155
	v_fma_f32 v115, v75, v157, -v45
	v_fma_f32 v117, v73, v159, -v39
	v_mul_f32_e32 v39, v9, v166
	v_mul_f32_e32 v41, v35, v162
	v_fmac_f32_e32 v118, v35, v161
	s_waitcnt lgkmcnt(2)
	v_mul_f32_e32 v127, v49, v166
	v_mul_f32_e32 v35, v78, v168
	v_fma_f32 v123, v69, v163, -v37
	v_fma_f32 v120, v49, v165, -v39
	v_mul_f32_e32 v125, v51, v174
	v_mul_f32_e32 v37, v76, v170
	;; [unrolled: 1-line block ×3, first 2 shown]
	v_fma_f32 v33, v78, v167, -v33
	s_waitcnt vmcnt(10)
	v_mul_f32_e32 v45, v66, v182
	v_fmac_f32_e32 v128, v7, v171
	v_mul_f32_e32 v78, v30, v182
	s_waitcnt vmcnt(7)
	v_mul_f32_e32 v152, v16, v194
	v_fmac_f32_e32 v127, v9, v165
	v_mul_f32_e32 v9, v15, v174
	v_fmac_f32_e32 v35, v42, v167
	;; [unrolled: 2-line block ×3, first 2 shown]
	v_mul_f32_e32 v40, v72, v178
	v_mul_f32_e32 v69, v36, v178
	;; [unrolled: 1-line block ×4, first 2 shown]
	v_fmac_f32_e32 v125, v15, v173
	v_fma_f32 v129, v3, v171, -v49
	v_mul_f32_e32 v75, v54, v194
	s_waitcnt vmcnt(4)
	v_mul_f32_e32 v3, v60, v206
	v_fmac_f32_e32 v45, v30, v181
	v_fma_f32 v30, v66, v181, -v78
	v_fma_f32 v78, v54, v193, -v152
	v_add_f32_e32 v54, v134, v128
	v_fma_f32 v119, v71, v161, -v41
	v_mul_f32_e32 v41, v74, v176
	v_mul_f32_e32 v67, v38, v176
	v_fma_f32 v39, v76, v169, -v39
	v_fma_f32 v126, v51, v173, -v9
	v_mul_f32_e32 v79, v14, v180
	v_mul_f32_e32 v49, v48, v188
	;; [unrolled: 1-line block ×4, first 2 shown]
	v_fmac_f32_e32 v40, v36, v177
	v_mul_f32_e32 v151, v5, v192
	v_fma_f32 v36, v72, v177, -v69
	v_mul_f32_e32 v72, v55, v196
	v_mul_f32_e32 v71, v52, v198
	;; [unrolled: 1-line block ×3, first 2 shown]
	v_fmac_f32_e32 v42, v34, v183
	v_fma_f32 v34, v70, v183, -v73
	v_mul_f32_e32 v156, v22, v202
	v_mul_f32_e32 v9, v63, v204
	;; [unrolled: 1-line block ×4, first 2 shown]
	v_fmac_f32_e32 v3, v20, v205
	v_sub_f32_e32 v20, v129, v120
	v_add_f32_e32 v54, v54, v125
	v_fma_f32 v111, v77, v155, -v43
	v_mul_f32_e32 v43, v68, v186
	v_mul_f32_e32 v77, v32, v186
	;; [unrolled: 1-line block ×3, first 2 shown]
	v_fmac_f32_e32 v41, v38, v175
	s_waitcnt lgkmcnt(0)
	v_mul_f32_e32 v83, v138, v190
	v_fma_f32 v38, v74, v175, -v67
	v_mul_f32_e32 v74, v135, v190
	v_mul_f32_e32 v153, v17, v196
	;; [unrolled: 1-line block ×5, first 2 shown]
	v_fma_f32 v50, v50, v179, -v79
	v_fmac_f32_e32 v49, v8, v187
	v_fma_f32 v48, v48, v187, -v80
	v_fmac_f32_e32 v76, v5, v191
	;; [unrolled: 2-line block ×3, first 2 shown]
	v_fmac_f32_e32 v71, v12, v197
	v_fmac_f32_e32 v69, v13, v199
	v_fma_f32 v13, v62, v201, -v156
	v_fmac_f32_e32 v9, v23, v203
	v_fma_f32 v8, v63, v203, -v157
	v_fma_f32 v1, v60, v205, -v158
	v_sub_f32_e32 v23, v126, v123
	v_mul_f32_e32 v60, 0xbf65296c, v20
	v_mul_f32_e32 v62, 0xbf763a35, v20
	v_mul_f32_e32 v63, 0xbf4c4adb, v20
	v_add_f32_e32 v54, v54, v112
	v_fmac_f32_e32 v43, v32, v185
	v_fma_f32 v32, v68, v185, -v77
	v_fmac_f32_e32 v51, v14, v179
	v_fmac_f32_e32 v83, v135, v189
	v_fma_f32 v93, v138, v189, -v74
	v_fmac_f32_e32 v67, v22, v201
	v_add_f32_e32 v22, v125, v124
	v_mul_f32_e32 v135, 0xbf7ee86f, v23
	v_mul_f32_e32 v138, 0x3f06c442, v23
	v_add_f32_e32 v54, v54, v108
	v_fma_f32 v74, v55, v195, -v153
	v_fma_f32 v55, v52, v197, -v154
	v_fmamk_f32 v168, v22, 0x3dbcf732, v135
	v_fma_f32 v135, 0x3dbcf732, v22, -v135
	v_fmamk_f32 v171, v22, 0xbf59a7d5, v138
	v_fma_f32 v138, 0xbf59a7d5, v22, -v138
	v_add_f32_e32 v54, v54, v106
	v_sub_f32_e32 v52, v109, v117
	v_fmac_f32_e32 v75, v16, v193
	v_fma_f32 v16, v53, v199, -v155
	v_add_f32_e32 v53, v108, v116
	s_waitcnt vmcnt(0)
	v_mul_f32_e32 v151, 0x3eb8f4ab, v52
	v_mul_f32_e32 v152, 0xbf65296c, v52
	;; [unrolled: 1-line block ×4, first 2 shown]
	s_barrier
	v_fmamk_f32 v184, v53, 0x3f6eb680, v151
	v_fma_f32 v151, 0x3f6eb680, v53, -v151
	v_fmamk_f32 v185, v53, 0x3ee437d1, v152
	v_fma_f32 v152, 0x3ee437d1, v53, -v152
	;; [unrolled: 2-line block ×4, first 2 shown]
	buffer_gl0_inv
	v_mul_f32_e32 v7, v61, v140
	v_mul_f32_e32 v140, v21, v140
	;; [unrolled: 1-line block ×7, first 2 shown]
	v_fmac_f32_e32 v7, v21, v139
	v_mul_f32_e32 v66, v59, v144
	v_mul_f32_e32 v144, v19, v144
	v_fma_f32 v5, v61, v139, -v140
	v_fma_f32 v12, v64, v141, -v142
	v_fmac_f32_e32 v70, v18, v209
	v_mul_f32_e32 v79, v137, v150
	v_mul_f32_e32 v150, v136, v150
	v_fma_f32 v17, v58, v209, -v160
	v_fma_f32 v18, v59, v143, -v144
	v_add_f32_e32 v21, v128, v127
	v_mul_f32_e32 v58, 0xbeb8f4ab, v20
	v_mul_f32_e32 v59, 0xbf2c7751, v20
	;; [unrolled: 1-line block ×6, first 2 shown]
	v_fma_f32 v14, v65, v207, -v159
	v_fmac_f32_e32 v66, v19, v143
	v_fmac_f32_e32 v79, v136, v149
	v_fma_f32 v19, v137, v149, -v150
	v_mul_f32_e32 v65, 0xbf2c7751, v23
	v_mul_f32_e32 v136, 0xbf4c4adb, v23
	;; [unrolled: 1-line block ×6, first 2 shown]
	v_fmamk_f32 v167, v21, 0xbf7ba420, v20
	v_fma_f32 v20, 0xbf7ba420, v21, -v20
	v_fmamk_f32 v160, v21, 0x3f6eb680, v58
	v_fma_f32 v58, 0x3f6eb680, v21, -v58
	;; [unrolled: 2-line block ×14, first 2 shown]
	v_add_f32_e32 v20, v134, v20
	v_fmac_f32_e32 v15, v28, v141
	v_sub_f32_e32 v28, v113, v119
	v_mul_f32_e32 v73, v56, v146
	v_mul_f32_e32 v146, v10, v146
	v_add_f32_e32 v20, v22, v20
	v_add_f32_e32 v22, v54, v105
	v_mul_f32_e32 v77, v57, v148
	v_mul_f32_e32 v148, v11, v148
	v_fmac_f32_e32 v68, v29, v207
	v_add_f32_e32 v29, v112, v118
	v_add_f32_e32 v22, v22, v98
	v_mul_f32_e32 v141, 0xbf65296c, v28
	v_mul_f32_e32 v142, 0xbf4c4adb, v28
	;; [unrolled: 1-line block ×4, first 2 shown]
	v_add_f32_e32 v22, v22, v97
	v_add_f32_e32 v160, v134, v160
	;; [unrolled: 1-line block ×11, first 2 shown]
	v_fmac_f32_e32 v73, v10, v145
	v_fma_f32 v10, v56, v145, -v146
	v_fmac_f32_e32 v77, v11, v147
	v_fma_f32 v11, v57, v147, -v148
	v_add_f32_e32 v22, v22, v110
	v_sub_f32_e32 v56, v107, v115
	v_mul_f32_e32 v145, 0x3f2c7751, v28
	v_mul_f32_e32 v146, 0xbeb8f4ab, v28
	;; [unrolled: 1-line block ×3, first 2 shown]
	v_add_f32_e32 v22, v22, v114
	v_mul_f32_e32 v28, 0xbf06c442, v28
	v_mul_f32_e32 v148, 0xbf7ee86f, v52
	;; [unrolled: 1-line block ×4, first 2 shown]
	v_fmamk_f32 v23, v29, 0x3ee437d1, v141
	v_fma_f32 v141, 0x3ee437d1, v29, -v141
	v_fmamk_f32 v175, v29, 0xbf1a4643, v142
	v_fma_f32 v142, 0xbf1a4643, v29, -v142
	;; [unrolled: 2-line block ×4, first 2 shown]
	v_add_f32_e32 v62, v134, v62
	v_add_f32_e32 v165, v134, v165
	v_add_f32_e32 v63, v134, v63
	v_add_f32_e32 v21, v21, v160
	v_add_f32_e32 v58, v65, v58
	v_add_f32_e32 v161, v168, v161
	v_add_f32_e32 v59, v135, v59
	v_add_f32_e32 v162, v169, v162
	v_add_f32_e32 v60, v136, v60
	v_add_f32_e32 v136, v170, v163
	v_add_f32_e32 v61, v137, v61
	v_add_f32_e32 v22, v22, v116
	v_add_f32_e32 v57, v106, v114
	v_mul_f32_e32 v52, 0x3f2c7751, v52
	v_mul_f32_e32 v155, 0xbf763a35, v56
	;; [unrolled: 1-line block ×4, first 2 shown]
	v_fmamk_f32 v178, v29, 0x3f3d2fb0, v145
	v_fma_f32 v145, 0x3f3d2fb0, v29, -v145
	v_fmamk_f32 v179, v29, 0x3f6eb680, v146
	v_fma_f32 v146, 0x3f6eb680, v29, -v146
	v_fmamk_f32 v180, v29, 0x3dbcf732, v147
	v_fma_f32 v147, 0x3dbcf732, v29, -v147
	v_fmamk_f32 v181, v29, 0xbf59a7d5, v28
	v_fma_f32 v28, 0xbf59a7d5, v29, -v28
	v_fmamk_f32 v29, v53, 0x3dbcf732, v148
	v_fmamk_f32 v182, v53, 0xbf7ba420, v149
	v_fma_f32 v149, 0xbf7ba420, v53, -v149
	v_fmamk_f32 v183, v53, 0xbe8c1d8e, v150
	v_fma_f32 v150, 0xbe8c1d8e, v53, -v150
	v_add_f32_e32 v164, v134, v164
	v_add_f32_e32 v166, v134, v166
	;; [unrolled: 1-line block ×14, first 2 shown]
	v_mul_f32_e32 v159, 0xbe3c28d5, v56
	v_fma_f32 v148, 0x3dbcf732, v53, -v148
	v_fmamk_f32 v188, v53, 0x3f3d2fb0, v52
	v_fma_f32 v52, 0x3f3d2fb0, v53, -v52
	v_mul_f32_e32 v53, 0x3f7ee86f, v56
	v_add_f32_e32 v64, v134, v64
	v_add_f32_e32 v167, v134, v167
	v_fmamk_f32 v134, v57, 0xbe8c1d8e, v155
	v_fmamk_f32 v65, v57, 0x3f3d2fb0, v157
	v_fma_f32 v157, 0x3f3d2fb0, v57, -v157
	v_fmamk_f32 v168, v57, 0x3ee437d1, v158
	v_fma_f32 v158, 0x3ee437d1, v57, -v158
	v_add_f32_e32 v137, v171, v164
	v_add_f32_e32 v139, v173, v166
	;; [unrolled: 1-line block ×28, first 2 shown]
	v_fma_f32 v22, 0xbf7ba420, v57, -v159
	v_fmamk_f32 v65, v57, 0x3dbcf732, v53
	v_mul_f32_e32 v134, 0xbeb8f4ab, v56
	v_fma_f32 v53, 0x3dbcf732, v57, -v53
	v_mul_f32_e32 v156, 0x3f06c442, v56
	v_fmamk_f32 v135, v57, 0xbf7ba420, v159
	v_add_f32_e32 v64, v147, v64
	v_add_f32_e32 v140, v181, v140
	;; [unrolled: 1-line block ×6, first 2 shown]
	v_fmamk_f32 v65, v57, 0x3f6eb680, v134
	v_mul_f32_e32 v56, 0xbf4c4adb, v56
	v_add_f32_e32 v53, v53, v63
	v_sub_f32_e32 v63, v100, v111
	v_fma_f32 v155, 0xbe8c1d8e, v57, -v155
	v_add_f32_e32 v23, v148, v23
	v_add_f32_e32 v64, v154, v64
	;; [unrolled: 1-line block ×4, first 2 shown]
	v_fma_f32 v134, 0x3f6eb680, v57, -v134
	v_add_f32_e32 v65, v65, v137
	v_fmamk_f32 v135, v57, 0xbf1a4643, v56
	v_add_f32_e32 v136, v105, v110
	v_mul_f32_e32 v137, 0xbf4c4adb, v63
	v_fma_f32 v56, 0xbf1a4643, v57, -v56
	v_fmamk_f32 v160, v57, 0xbf59a7d5, v156
	v_fma_f32 v156, 0xbf59a7d5, v57, -v156
	v_add_f32_e32 v23, v155, v23
	v_add_f32_e32 v64, v134, v64
	v_add_f32_e32 v57, v135, v138
	v_mul_f32_e32 v134, 0x3f763a35, v63
	v_fmamk_f32 v135, v136, 0xbf1a4643, v137
	v_fma_f32 v137, 0xbf1a4643, v136, -v137
	v_add_f32_e32 v20, v56, v20
	v_mul_f32_e32 v56, 0xbeb8f4ab, v63
	v_add_f32_e32 v29, v156, v29
	v_fmamk_f32 v138, v136, 0xbe8c1d8e, v134
	v_add_f32_e32 v21, v135, v21
	v_add_f32_e32 v23, v137, v23
	v_fma_f32 v134, 0xbe8c1d8e, v136, -v134
	v_fmamk_f32 v135, v136, 0x3f6eb680, v56
	v_mul_f32_e32 v137, 0xbf06c442, v63
	v_fma_f32 v56, 0x3f6eb680, v136, -v56
	v_add_f32_e32 v28, v160, v28
	v_add_f32_e32 v29, v134, v29
	;; [unrolled: 1-line block ×3, first 2 shown]
	v_mul_f32_e32 v134, 0x3f7ee86f, v63
	v_fmamk_f32 v135, v136, 0xbf59a7d5, v137
	v_add_f32_e32 v54, v56, v54
	v_fma_f32 v56, 0xbf59a7d5, v136, -v137
	v_mul_f32_e32 v137, 0xbf2c7751, v63
	v_add_f32_e32 v28, v138, v28
	v_fmamk_f32 v138, v136, 0x3dbcf732, v134
	v_fma_f32 v134, 0x3dbcf732, v136, -v134
	v_add_f32_e32 v56, v56, v59
	v_fmamk_f32 v59, v136, 0x3f3d2fb0, v137
	v_add_f32_e32 v58, v135, v58
	v_fma_f32 v135, 0x3f3d2fb0, v136, -v137
	v_add_f32_e32 v22, v134, v22
	v_mul_f32_e32 v134, 0xbe3c28d5, v63
	v_add_f32_e32 v59, v59, v62
	v_mul_f32_e32 v62, 0x3f65296c, v63
	v_sub_f32_e32 v63, v94, v99
	v_add_f32_e32 v61, v138, v61
	v_add_f32_e32 v53, v135, v53
	v_fmamk_f32 v135, v136, 0xbf7ba420, v134
	v_fma_f32 v134, 0xbf7ba420, v136, -v134
	v_fmamk_f32 v137, v136, 0x3ee437d1, v62
	v_add_f32_e32 v138, v98, v95
	v_mul_f32_e32 v139, 0xbf06c442, v63
	v_fma_f32 v62, 0x3ee437d1, v136, -v62
	v_add_f32_e32 v65, v135, v65
	v_add_f32_e32 v64, v134, v64
	v_mul_f32_e32 v135, 0x3f65296c, v63
	v_fmamk_f32 v134, v138, 0xbf59a7d5, v139
	v_fma_f32 v136, 0xbf59a7d5, v138, -v139
	v_add_f32_e32 v20, v62, v20
	v_mul_f32_e32 v62, 0xbf7ee86f, v63
	v_add_f32_e32 v57, v137, v57
	v_add_f32_e32 v21, v134, v21
	v_fmamk_f32 v134, v138, 0x3ee437d1, v135
	v_add_f32_e32 v23, v136, v23
	v_fma_f32 v135, 0x3ee437d1, v138, -v135
	v_fmamk_f32 v136, v138, 0x3dbcf732, v62
	v_mul_f32_e32 v137, 0x3f4c4adb, v63
	v_fma_f32 v62, 0x3dbcf732, v138, -v62
	v_add_f32_e32 v28, v134, v28
	v_add_f32_e32 v29, v135, v29
	;; [unrolled: 1-line block ×3, first 2 shown]
	v_fmamk_f32 v134, v138, 0xbf1a4643, v137
	v_mul_f32_e32 v135, 0xbeb8f4ab, v63
	v_add_f32_e32 v54, v62, v54
	v_fma_f32 v62, 0xbf1a4643, v138, -v137
	v_mul_f32_e32 v136, 0xbe3c28d5, v63
	v_add_f32_e32 v58, v134, v58
	v_fmamk_f32 v134, v138, 0x3f6eb680, v135
	v_fma_f32 v135, 0x3f6eb680, v138, -v135
	v_add_f32_e32 v56, v62, v56
	v_fmamk_f32 v62, v138, 0xbf7ba420, v136
	v_fma_f32 v136, 0xbf7ba420, v138, -v136
	v_add_f32_e32 v61, v134, v61
	v_add_f32_e32 v134, v135, v22
	v_mul_f32_e32 v22, 0x3f2c7751, v63
	v_add_f32_e32 v59, v62, v59
	v_add_f32_e32 v62, v136, v53
	v_sub_f32_e32 v135, v92, v91
	v_mul_f32_e32 v53, 0xbf763a35, v63
	v_fmamk_f32 v63, v138, 0x3f3d2fb0, v22
	v_fma_f32 v22, 0x3f3d2fb0, v138, -v22
	v_add_f32_e32 v136, v97, v82
	v_mul_f32_e32 v137, 0xbe3c28d5, v135
	v_fmamk_f32 v139, v138, 0xbe8c1d8e, v53
	v_fma_f32 v53, 0xbe8c1d8e, v138, -v53
	v_add_f32_e32 v63, v63, v65
	v_add_f32_e32 v64, v22, v64
	v_fmamk_f32 v22, v136, 0xbf7ba420, v137
	v_add_f32_e32 v65, v139, v57
	v_mul_f32_e32 v57, 0x3eb8f4ab, v135
	v_add_f32_e32 v20, v53, v20
	v_fma_f32 v53, 0xbf7ba420, v136, -v137
	v_add_f32_e32 v137, v22, v21
	v_mul_f32_e32 v21, 0xbf06c442, v135
	v_fmamk_f32 v138, v136, 0x3f6eb680, v57
	v_fma_f32 v57, 0x3f6eb680, v136, -v57
	v_add_f32_e32 v22, v53, v23
	v_mul_f32_e32 v53, 0x3f2c7751, v135
	v_fmamk_f32 v139, v136, 0xbf59a7d5, v21
	v_fma_f32 v21, 0xbf59a7d5, v136, -v21
	v_add_f32_e32 v23, v57, v29
	v_add_f32_e32 v138, v138, v28
	v_fmamk_f32 v29, v136, 0x3f3d2fb0, v53
	v_fma_f32 v53, 0x3f3d2fb0, v136, -v53
	v_add_f32_e32 v139, v139, v52
	v_mul_f32_e32 v52, 0xbf4c4adb, v135
	v_add_f32_e32 v28, v21, v54
	v_add_f32_e32 v140, v29, v58
	v_mul_f32_e32 v21, 0x3f65296c, v135
	v_add_f32_e32 v29, v53, v56
	v_mul_f32_e32 v56, 0xbf763a35, v135
	v_fmamk_f32 v54, v136, 0xbf1a4643, v52
	v_mul_f32_e32 v58, 0x3f7ee86f, v135
	v_fmamk_f32 v53, v136, 0x3ee437d1, v21
	v_fma_f32 v21, 0x3ee437d1, v136, -v21
	v_fmamk_f32 v57, v136, 0xbe8c1d8e, v56
	v_add_f32_e32 v61, v54, v61
	v_fma_f32 v52, 0xbf1a4643, v136, -v52
	v_add_f32_e32 v53, v53, v59
	v_add_f32_e32 v54, v21, v62
	v_fma_f32 v21, 0xbe8c1d8e, v136, -v56
	v_add_f32_e32 v56, v57, v63
	v_fmamk_f32 v59, v136, 0x3dbcf732, v58
	v_fma_f32 v63, 0x3dbcf732, v136, -v58
	v_sub_f32_e32 v62, v50, v93
	v_add_f32_e32 v57, v21, v64
	v_mov_b32_e32 v21, 2
	v_add_f32_e32 v58, v59, v65
	v_add_f32_e32 v59, v63, v20
	v_and_b32_e32 v20, 0xffff, v132
	v_add_f32_e32 v52, v52, v134
	v_lshlrev_b32_sdwa v133, v21, v133 dst_sel:DWORD dst_unused:UNUSED_PAD src0_sel:DWORD src1_sel:BYTE_0
	v_add_f32_e32 v64, v51, v83
	v_mul_f32_e32 v134, 0xbeb8f4ab, v62
	v_mad_u32_u24 v20, 0x1dc, v20, 0
	v_mul_f32_e32 v65, 0xbf2c7751, v62
	v_mul_f32_e32 v132, 0xbf65296c, v62
	v_add_f32_e32 v143, v45, v49
	v_fmamk_f32 v63, v64, 0x3f6eb680, v134
	v_add3_u32 v20, v20, v133, v122
	v_mul_f32_e32 v133, 0xbf7ee86f, v62
	v_fma_f32 v134, 0x3f6eb680, v64, -v134
	v_fmamk_f32 v135, v64, 0x3f3d2fb0, v65
	v_fmamk_f32 v136, v64, 0x3ee437d1, v132
	ds_write2_b32 v20, v60, v137 offset1:7
	v_mul_f32_e32 v60, 0xbf763a35, v62
	v_fmamk_f32 v137, v64, 0x3dbcf732, v133
	ds_write2_b32 v20, v138, v139 offset0:14 offset1:21
	v_mul_f32_e32 v139, 0xbf4c4adb, v62
	ds_write2_b32 v20, v140, v61 offset0:28 offset1:35
	v_fmamk_f32 v138, v64, 0xbe8c1d8e, v60
	v_mul_f32_e32 v61, 0xbf06c442, v62
	v_mul_f32_e32 v62, 0xbe3c28d5, v62
	v_fma_f32 v65, 0x3f3d2fb0, v64, -v65
	v_fma_f32 v132, 0x3ee437d1, v64, -v132
	;; [unrolled: 1-line block ×4, first 2 shown]
	v_fmamk_f32 v140, v64, 0xbf1a4643, v139
	v_fma_f32 v139, 0xbf1a4643, v64, -v139
	v_fmamk_f32 v141, v64, 0xbf59a7d5, v61
	v_fma_f32 v61, 0xbf59a7d5, v64, -v61
	;; [unrolled: 2-line block ×3, first 2 shown]
	v_add_f32_e32 v64, v6, v134
	v_add_f32_e32 v134, v6, v135
	;; [unrolled: 1-line block ×5, first 2 shown]
	v_sub_f32_e32 v138, v30, v48
	v_add_f32_e32 v63, v6, v63
	v_add_f32_e32 v65, v6, v65
	;; [unrolled: 1-line block ×4, first 2 shown]
	v_mul_f32_e32 v144, 0xbf2c7751, v138
	v_mul_f32_e32 v145, 0xbf7ee86f, v138
	;; [unrolled: 1-line block ×3, first 2 shown]
	v_add_f32_e32 v60, v6, v60
	v_add_f32_e32 v140, v6, v140
	v_fmamk_f32 v146, v143, 0x3f3d2fb0, v144
	v_fma_f32 v144, 0x3f3d2fb0, v143, -v144
	v_fmamk_f32 v148, v143, 0x3dbcf732, v145
	v_add_f32_e32 v139, v6, v139
	v_add_f32_e32 v141, v6, v141
	;; [unrolled: 1-line block ×4, first 2 shown]
	v_fma_f32 v144, 0x3dbcf732, v143, -v145
	v_fmamk_f32 v145, v143, 0xbf1a4643, v147
	v_mul_f32_e32 v146, 0xbe3c28d5, v138
	v_fma_f32 v147, 0xbf1a4643, v143, -v147
	v_add_f32_e32 v134, v148, v134
	v_add_f32_e32 v65, v144, v65
	v_mul_f32_e32 v144, 0x3f06c442, v138
	v_add_f32_e32 v135, v145, v135
	v_fmamk_f32 v145, v143, 0xbf7ba420, v146
	v_add_f32_e32 v132, v147, v132
	v_mul_f32_e32 v147, 0x3f763a35, v138
	v_fma_f32 v146, 0xbf7ba420, v143, -v146
	v_fmamk_f32 v148, v143, 0xbf59a7d5, v144
	v_fma_f32 v144, 0xbf59a7d5, v143, -v144
	v_add_f32_e32 v136, v145, v136
	v_fmamk_f32 v145, v143, 0xbe8c1d8e, v147
	v_add_f32_e32 v133, v146, v133
	v_mul_f32_e32 v146, 0x3f65296c, v138
	v_add_f32_e32 v60, v144, v60
	v_mul_f32_e32 v138, 0x3eb8f4ab, v138
	v_fma_f32 v144, 0xbe8c1d8e, v143, -v147
	v_sub_f32_e32 v147, v96, v32
	v_add_f32_e32 v61, v6, v61
	v_add_f32_e32 v137, v148, v137
	;; [unrolled: 1-line block ×3, first 2 shown]
	v_fmamk_f32 v145, v143, 0x3ee437d1, v146
	v_fma_f32 v146, 0x3ee437d1, v143, -v146
	v_fmamk_f32 v148, v143, 0x3f6eb680, v138
	v_fma_f32 v138, 0x3f6eb680, v143, -v138
	v_add_f32_e32 v139, v144, v139
	v_add_f32_e32 v143, v90, v43
	v_mul_f32_e32 v144, 0xbf65296c, v147
	v_add_f32_e32 v62, v6, v62
	v_add_f32_e32 v141, v145, v141
	;; [unrolled: 1-line block ×3, first 2 shown]
	v_mul_f32_e32 v145, 0xbf4c4adb, v147
	v_fmamk_f32 v146, v143, 0x3ee437d1, v144
	v_fma_f32 v144, 0x3ee437d1, v143, -v144
	v_add_f32_e32 v142, v6, v142
	v_add_f32_e32 v62, v138, v62
	v_mul_f32_e32 v138, 0x3e3c28d5, v147
	v_add_f32_e32 v63, v146, v63
	v_add_f32_e32 v64, v144, v64
	v_fma_f32 v144, 0xbf1a4643, v143, -v145
	v_add_f32_e32 v142, v148, v142
	v_fmamk_f32 v148, v143, 0xbf1a4643, v145
	v_fmamk_f32 v145, v143, 0xbf7ba420, v138
	v_mul_f32_e32 v146, 0x3f763a35, v147
	v_fma_f32 v138, 0xbf7ba420, v143, -v138
	v_add_f32_e32 v65, v144, v65
	v_mul_f32_e32 v144, 0x3f2c7751, v147
	v_add_f32_e32 v134, v148, v134
	v_add_f32_e32 v135, v145, v135
	v_fmamk_f32 v145, v143, 0xbe8c1d8e, v146
	v_add_f32_e32 v132, v138, v132
	v_mul_f32_e32 v138, 0xbeb8f4ab, v147
	v_fma_f32 v146, 0xbe8c1d8e, v143, -v146
	v_fmamk_f32 v148, v143, 0x3f3d2fb0, v144
	v_fma_f32 v144, 0x3f3d2fb0, v143, -v144
	v_add_f32_e32 v136, v145, v136
	v_fmamk_f32 v145, v143, 0x3f6eb680, v138
	v_add_f32_e32 v133, v146, v133
	v_mul_f32_e32 v146, 0xbf7ee86f, v147
	v_add_f32_e32 v60, v144, v60
	v_mul_f32_e32 v144, 0xbf06c442, v147
	v_fma_f32 v138, 0x3f6eb680, v143, -v138
	v_sub_f32_e32 v147, v89, v34
	v_add_f32_e32 v137, v148, v137
	v_add_f32_e32 v140, v145, v140
	v_fmamk_f32 v145, v143, 0x3dbcf732, v146
	v_fma_f32 v146, 0x3dbcf732, v143, -v146
	v_fmamk_f32 v148, v143, 0xbf59a7d5, v144
	v_fma_f32 v143, 0xbf59a7d5, v143, -v144
	v_add_f32_e32 v138, v138, v139
	v_add_f32_e32 v139, v88, v42
	v_mul_f32_e32 v144, 0xbf7ee86f, v147
	v_add_f32_e32 v141, v145, v141
	v_add_f32_e32 v61, v146, v61
	v_mul_f32_e32 v145, 0xbe3c28d5, v147
	v_add_f32_e32 v62, v143, v62
	v_fmamk_f32 v146, v139, 0x3dbcf732, v144
	v_fma_f32 v144, 0x3dbcf732, v139, -v144
	v_mul_f32_e32 v143, 0x3f763a35, v147
	v_add_f32_e32 v142, v148, v142
	v_fmamk_f32 v148, v139, 0xbf7ba420, v145
	v_add_f32_e32 v63, v146, v63
	v_add_f32_e32 v64, v144, v64
	v_fma_f32 v144, 0xbf7ba420, v139, -v145
	v_fmamk_f32 v145, v139, 0xbe8c1d8e, v143
	v_mul_f32_e32 v146, 0x3eb8f4ab, v147
	v_fma_f32 v143, 0xbe8c1d8e, v139, -v143
	v_add_f32_e32 v134, v148, v134
	v_add_f32_e32 v65, v144, v65
	v_mul_f32_e32 v144, 0xbf65296c, v147
	v_add_f32_e32 v135, v145, v135
	v_fmamk_f32 v145, v139, 0x3f6eb680, v146
	v_add_f32_e32 v132, v143, v132
	v_mul_f32_e32 v143, 0xbf06c442, v147
	v_fma_f32 v146, 0x3f6eb680, v139, -v146
	v_fmamk_f32 v148, v139, 0x3ee437d1, v144
	v_fma_f32 v144, 0x3ee437d1, v139, -v144
	v_add_f32_e32 v136, v145, v136
	v_fmamk_f32 v145, v139, 0xbf59a7d5, v143
	v_add_f32_e32 v133, v146, v133
	v_mul_f32_e32 v146, 0x3f4c4adb, v147
	v_add_f32_e32 v60, v144, v60
	v_mul_f32_e32 v144, 0x3f2c7751, v147
	v_fma_f32 v143, 0xbf59a7d5, v139, -v143
	v_sub_f32_e32 v147, v87, v36
	v_add_f32_e32 v137, v148, v137
	v_add_f32_e32 v140, v145, v140
	v_fmamk_f32 v145, v139, 0xbf1a4643, v146
	v_fma_f32 v146, 0xbf1a4643, v139, -v146
	v_fmamk_f32 v148, v139, 0x3f3d2fb0, v144
	v_fma_f32 v139, 0x3f3d2fb0, v139, -v144
	v_add_f32_e32 v138, v143, v138
	v_add_f32_e32 v143, v85, v40
	v_mul_f32_e32 v144, 0xbf763a35, v147
	v_add_f32_e32 v141, v145, v141
	v_add_f32_e32 v61, v146, v61
	v_mul_f32_e32 v145, 0x3f06c442, v147
	v_add_f32_e32 v62, v139, v62
	v_fmamk_f32 v146, v143, 0xbe8c1d8e, v144
	v_fma_f32 v144, 0xbe8c1d8e, v143, -v144
	v_mul_f32_e32 v139, 0x3f2c7751, v147
	v_add_f32_e32 v142, v148, v142
	v_fmamk_f32 v148, v143, 0xbf59a7d5, v145
	v_add_f32_e32 v63, v146, v63
	v_add_f32_e32 v64, v144, v64
	v_fma_f32 v144, 0xbf59a7d5, v143, -v145
	v_fmamk_f32 v145, v143, 0x3f3d2fb0, v139
	v_mul_f32_e32 v146, 0xbf65296c, v147
	v_fma_f32 v139, 0x3f3d2fb0, v143, -v139
	v_add_f32_e32 v134, v148, v134
	v_add_f32_e32 v65, v144, v65
	v_mul_f32_e32 v144, 0xbe3c28d5, v147
	;; [unrolled: 42-line block ×3, first 2 shown]
	v_add_f32_e32 v135, v145, v135
	v_fmamk_f32 v145, v139, 0xbf59a7d5, v146
	v_add_f32_e32 v132, v143, v132
	v_mul_f32_e32 v143, 0xbf2c7751, v147
	v_fma_f32 v146, 0xbf59a7d5, v139, -v146
	v_fmamk_f32 v148, v139, 0x3dbcf732, v144
	v_fma_f32 v144, 0x3dbcf732, v139, -v144
	v_add_f32_e32 v136, v145, v136
	v_fmamk_f32 v145, v139, 0x3f3d2fb0, v143
	v_add_f32_e32 v133, v146, v133
	v_mul_f32_e32 v146, 0xbe3c28d5, v147
	v_add_f32_e32 v60, v144, v60
	v_mul_f32_e32 v144, 0x3f65296c, v147
	v_fma_f32 v143, 0x3f3d2fb0, v139, -v143
	v_sub_f32_e32 v147, v46, v39
	v_add_f32_e32 v6, v6, v51
	v_add_f32_e32 v137, v148, v137
	;; [unrolled: 1-line block ×3, first 2 shown]
	v_fmamk_f32 v145, v139, 0xbf7ba420, v146
	v_fma_f32 v146, 0xbf7ba420, v139, -v146
	v_fmamk_f32 v148, v139, 0x3ee437d1, v144
	v_fma_f32 v139, 0x3ee437d1, v139, -v144
	v_add_f32_e32 v138, v143, v138
	v_add_f32_e32 v143, v47, v37
	v_mul_f32_e32 v144, 0xbf06c442, v147
	v_add_f32_e32 v141, v145, v141
	v_add_f32_e32 v61, v146, v61
	v_mul_f32_e32 v145, 0x3f65296c, v147
	v_add_f32_e32 v62, v139, v62
	v_fmamk_f32 v146, v143, 0xbf59a7d5, v144
	v_fma_f32 v144, 0xbf59a7d5, v143, -v144
	v_mul_f32_e32 v139, 0xbf7ee86f, v147
	v_add_f32_e32 v6, v6, v45
	v_add_f32_e32 v142, v148, v142
	v_fmamk_f32 v148, v143, 0x3ee437d1, v145
	v_add_f32_e32 v63, v146, v63
	v_add_f32_e32 v64, v144, v64
	v_fma_f32 v144, 0x3ee437d1, v143, -v145
	v_fmamk_f32 v145, v143, 0x3dbcf732, v139
	v_fma_f32 v139, 0x3dbcf732, v143, -v139
	v_mul_f32_e32 v146, 0x3f4c4adb, v147
	v_add_f32_e32 v6, v6, v90
	v_add_f32_e32 v65, v144, v65
	v_add_f32_e32 v135, v145, v135
	v_mul_f32_e32 v144, 0xbeb8f4ab, v147
	v_add_f32_e32 v132, v139, v132
	v_fmamk_f32 v139, v143, 0xbf1a4643, v146
	v_mul_f32_e32 v145, 0xbe3c28d5, v147
	v_add_f32_e32 v6, v6, v88
	v_add_f32_e32 v134, v148, v134
	v_fmamk_f32 v148, v143, 0x3f6eb680, v144
	v_fma_f32 v144, 0x3f6eb680, v143, -v144
	v_add_f32_e32 v136, v139, v136
	v_fmamk_f32 v139, v143, 0xbf7ba420, v145
	v_add_f32_e32 v6, v6, v85
	v_fma_f32 v146, 0xbf1a4643, v143, -v146
	v_add_f32_e32 v60, v144, v60
	v_mul_f32_e32 v144, 0x3f2c7751, v147
	v_add_f32_e32 v139, v139, v140
	v_mul_f32_e32 v140, 0xbf763a35, v147
	v_add_f32_e32 v6, v6, v84
	v_add_f32_e32 v133, v146, v133
	v_fma_f32 v145, 0xbf7ba420, v143, -v145
	v_fmamk_f32 v146, v143, 0x3f3d2fb0, v144
	v_fma_f32 v144, 0x3f3d2fb0, v143, -v144
	v_fmamk_f32 v147, v143, 0xbe8c1d8e, v140
	v_fma_f32 v140, 0xbe8c1d8e, v143, -v140
	v_sub_f32_e32 v143, v44, v33
	v_add_f32_e32 v6, v6, v47
	v_add_f32_e32 v138, v145, v138
	;; [unrolled: 1-line block ×4, first 2 shown]
	v_mul_f32_e32 v144, 0x3eb8f4ab, v143
	v_add_f32_e32 v6, v6, v31
	v_add_f32_e32 v141, v146, v141
	v_mul_f32_e32 v146, 0xbe3c28d5, v143
	v_add_f32_e32 v62, v140, v62
	v_fmamk_f32 v140, v145, 0x3f6eb680, v144
	v_add_f32_e32 v6, v6, v35
	v_add_f32_e32 v142, v147, v142
	v_fmamk_f32 v147, v145, 0xbf7ba420, v146
	v_fma_f32 v146, 0xbf7ba420, v145, -v146
	v_add_f32_e32 v134, v140, v134
	v_fma_f32 v140, 0x3f6eb680, v145, -v144
	v_mul_f32_e32 v144, 0x3f2c7751, v143
	v_add_f32_e32 v6, v6, v37
	v_add_f32_e32 v64, v146, v64
	v_mul_f32_e32 v146, 0xbf06c442, v143
	v_add_f32_e32 v65, v140, v65
	v_fmamk_f32 v140, v145, 0x3f3d2fb0, v144
	v_add_f32_e32 v6, v6, v41
	v_add_f32_e32 v63, v147, v63
	v_fmamk_f32 v147, v145, 0xbf59a7d5, v146
	v_fma_f32 v146, 0xbf59a7d5, v145, -v146
	v_add_f32_e32 v136, v140, v136
	v_fma_f32 v140, 0x3f3d2fb0, v145, -v144
	v_mul_f32_e32 v144, 0x3f65296c, v143
	v_add_f32_e32 v6, v6, v40
	v_add_f32_e32 v132, v146, v132
	v_mul_f32_e32 v146, 0xbf4c4adb, v143
	v_add_f32_e32 v133, v140, v133
	v_fmamk_f32 v140, v145, 0x3ee437d1, v144
	v_add_f32_e32 v6, v6, v42
	v_add_f32_e32 v137, v148, v137
	;; [unrolled: 1-line block ×3, first 2 shown]
	v_fmamk_f32 v147, v145, 0xbf1a4643, v146
	v_fma_f32 v146, 0xbf1a4643, v145, -v146
	v_add_f32_e32 v139, v140, v139
	v_mul_f32_e32 v140, 0x3f7ee86f, v143
	v_add_f32_e32 v6, v6, v43
	v_add_f32_e32 v137, v147, v137
	;; [unrolled: 1-line block ×3, first 2 shown]
	v_mul_f32_e32 v146, 0xbf763a35, v143
	v_fmamk_f32 v147, v145, 0x3dbcf732, v140
	v_fma_f32 v140, 0x3dbcf732, v145, -v140
	v_add_f32_e32 v6, v6, v49
	v_lshlrev_b32_sdwa v131, v21, v131 dst_sel:DWORD dst_unused:UNUSED_PAD src0_sel:DWORD src1_sel:BYTE_0
	v_fma_f32 v143, 0x3ee437d1, v145, -v144
	v_fmamk_f32 v144, v145, 0xbe8c1d8e, v146
	v_fma_f32 v146, 0xbe8c1d8e, v145, -v146
	v_add_f32_e32 v62, v140, v62
	v_add_f32_e32 v140, v6, v83
	v_add3_u32 v6, v130, v131, v122
	v_add_f32_e32 v138, v143, v138
	v_add_f32_e32 v141, v144, v141
	;; [unrolled: 1-line block ×4, first 2 shown]
	ds_write2_b32 v20, v53, v56 offset0:42 offset1:49
	ds_write2_b32 v20, v58, v59 offset0:56 offset1:63
	;; [unrolled: 1-line block ×5, first 2 shown]
	ds_write_b32 v20, v22 offset:448
	ds_write2_b32 v6, v140, v63 offset1:7
	ds_write2_b32 v6, v134, v135 offset0:14 offset1:21
	ds_write2_b32 v6, v136, v137 offset0:28 offset1:35
	;; [unrolled: 1-line block ×7, first 2 shown]
	ds_write_b32 v6, v64 offset:448
	s_and_saveexec_b32 s1, s0
	s_cbranch_execz .LBB0_16
; %bb.15:
	v_sub_f32_e32 v57, v80, v19
	v_add_f32_e32 v54, v76, v79
	v_sub_f32_e32 v60, v78, v11
	v_add_f32_e32 v29, v75, v77
	v_sub_f32_e32 v61, v74, v10
	v_mul_f32_e32 v64, 0xbe3c28d5, v57
	v_add_f32_e32 v22, v72, v73
	v_mul_f32_e32 v65, 0x3eb8f4ab, v60
	v_sub_f32_e32 v58, v55, v18
	v_mul_f32_e32 v130, 0xbf06c442, v61
	v_fma_f32 v52, 0xbf7ba420, v54, -v64
	v_add_f32_e32 v23, v71, v66
	v_fma_f32 v56, 0x3f6eb680, v29, -v65
	v_sub_f32_e32 v59, v16, v17
	v_mul_f32_e32 v131, 0x3f2c7751, v58
	v_add_f32_e32 v52, v4, v52
	v_fma_f32 v132, 0xbf59a7d5, v22, -v130
	v_add_f32_e32 v28, v69, v70
	v_sub_f32_e32 v62, v13, v14
	v_mul_f32_e32 v133, 0xbf4c4adb, v59
	v_add_f32_e32 v52, v56, v52
	v_fma_f32 v134, 0x3f3d2fb0, v23, -v131
	v_fmac_f32_e32 v64, 0xbf7ba420, v54
	v_add_f32_e32 v53, v67, v68
	v_sub_f32_e32 v63, v8, v12
	v_add_f32_e32 v132, v132, v52
	v_mul_f32_e32 v135, 0x3f65296c, v62
	v_fma_f32 v136, 0xbf1a4643, v28, -v133
	v_fmac_f32_e32 v65, 0x3f6eb680, v29
	v_add_f32_e32 v64, v4, v64
	v_add_f32_e32 v132, v134, v132
	;; [unrolled: 1-line block ×3, first 2 shown]
	v_mul_f32_e32 v134, 0xbf763a35, v63
	v_fma_f32 v137, 0x3ee437d1, v53, -v135
	v_fmac_f32_e32 v130, 0xbf59a7d5, v22
	v_add_f32_e32 v132, v136, v132
	v_add_f32_e32 v64, v65, v64
	v_mul_f32_e32 v136, 0xbf06c442, v57
	v_fma_f32 v138, 0xbe8c1d8e, v56, -v134
	v_fmac_f32_e32 v131, 0x3f3d2fb0, v23
	v_add_f32_e32 v132, v137, v132
	v_add_f32_e32 v64, v130, v64
	v_sub_f32_e32 v65, v1, v5
	v_fma_f32 v130, 0xbf59a7d5, v54, -v136
	v_mul_f32_e32 v137, 0x3f65296c, v60
	v_add_f32_e32 v52, v3, v7
	v_add_f32_e32 v132, v138, v132
	;; [unrolled: 1-line block ×3, first 2 shown]
	v_fmac_f32_e32 v133, 0xbf1a4643, v28
	v_mul_f32_e32 v131, 0x3f7ee86f, v65
	v_add_f32_e32 v130, v4, v130
	v_fma_f32 v138, 0x3ee437d1, v29, -v137
	v_mul_f32_e32 v139, 0xbf7ee86f, v61
	v_add_f32_e32 v64, v133, v64
	v_fmac_f32_e32 v135, 0x3ee437d1, v53
	v_fma_f32 v133, 0x3dbcf732, v52, -v131
	v_add_f32_e32 v130, v138, v130
	v_fma_f32 v138, 0x3dbcf732, v22, -v139
	v_mul_f32_e32 v140, 0x3f4c4adb, v58
	v_add_f32_e32 v135, v135, v64
	v_fmac_f32_e32 v134, 0xbe8c1d8e, v56
	v_add_f32_e32 v64, v133, v132
	v_add_f32_e32 v130, v138, v130
	v_fma_f32 v132, 0xbf1a4643, v23, -v140
	v_mul_f32_e32 v133, 0xbeb8f4ab, v59
	v_add_f32_e32 v134, v134, v135
	v_fmac_f32_e32 v131, 0x3dbcf732, v52
	v_fmac_f32_e32 v136, 0xbf59a7d5, v54
	v_add_f32_e32 v132, v132, v130
	v_fma_f32 v135, 0x3f6eb680, v28, -v133
	v_mul_f32_e32 v138, 0xbe3c28d5, v62
	v_add_f32_e32 v130, v131, v134
	v_add_f32_e32 v131, v4, v136
	v_fmac_f32_e32 v137, 0x3ee437d1, v29
	v_add_f32_e32 v132, v135, v132
	v_fma_f32 v134, 0xbf7ba420, v53, -v138
	v_mul_f32_e32 v135, 0xbf4c4adb, v57
	v_fmac_f32_e32 v139, 0x3dbcf732, v22
	v_add_f32_e32 v131, v137, v131
	v_mul_f32_e32 v137, 0x3f763a35, v60
	v_add_f32_e32 v132, v134, v132
	v_fma_f32 v134, 0xbf1a4643, v54, -v135
	v_fmac_f32_e32 v140, 0xbf1a4643, v23
	v_add_f32_e32 v131, v139, v131
	v_fma_f32 v139, 0xbe8c1d8e, v29, -v137
	v_mul_f32_e32 v142, 0xbeb8f4ab, v61
	v_add_f32_e32 v134, v4, v134
	v_mul_f32_e32 v136, 0x3f2c7751, v63
	v_add_f32_e32 v131, v140, v131
	v_fmac_f32_e32 v133, 0x3f6eb680, v28
	v_mul_f32_e32 v140, 0xbf06c442, v58
	v_add_f32_e32 v134, v139, v134
	v_fma_f32 v139, 0x3f6eb680, v22, -v142
	v_fma_f32 v141, 0x3f3d2fb0, v56, -v136
	v_add_f32_e32 v131, v133, v131
	v_fmac_f32_e32 v138, 0xbf7ba420, v53
	v_fmac_f32_e32 v136, 0x3f3d2fb0, v56
	v_add_f32_e32 v133, v139, v134
	v_fma_f32 v134, 0xbf59a7d5, v23, -v140
	v_mul_f32_e32 v139, 0x3f7ee86f, v59
	v_add_f32_e32 v132, v141, v132
	v_mul_f32_e32 v141, 0xbf763a35, v65
	v_add_f32_e32 v131, v138, v131
	v_add_f32_e32 v133, v134, v133
	v_fma_f32 v134, 0x3dbcf732, v28, -v139
	v_mul_f32_e32 v138, 0xbf2c7751, v62
	v_fma_f32 v143, 0xbe8c1d8e, v52, -v141
	v_fmac_f32_e32 v135, 0xbf1a4643, v54
	v_add_f32_e32 v131, v136, v131
	v_add_f32_e32 v133, v134, v133
	v_fma_f32 v134, 0x3f3d2fb0, v53, -v138
	v_mul_f32_e32 v136, 0xbe3c28d5, v63
	v_add_f32_e32 v132, v143, v132
	v_add_f32_e32 v135, v4, v135
	v_fmac_f32_e32 v137, 0xbe8c1d8e, v29
	v_add_f32_e32 v133, v134, v133
	v_fma_f32 v134, 0xbf7ba420, v56, -v136
	v_mul_f32_e32 v143, 0xbf763a35, v57
	v_fmac_f32_e32 v141, 0xbe8c1d8e, v52
	v_add_f32_e32 v135, v137, v135
	v_fmac_f32_e32 v142, 0x3f6eb680, v22
	v_add_f32_e32 v133, v134, v133
	v_fma_f32 v134, 0xbe8c1d8e, v54, -v143
	v_mul_f32_e32 v137, 0x3f06c442, v60
	v_add_f32_e32 v131, v141, v131
	v_add_f32_e32 v135, v142, v135
	v_fmac_f32_e32 v140, 0xbf59a7d5, v23
	v_mul_f32_e32 v141, 0x3f65296c, v65
	v_add_f32_e32 v134, v4, v134
	v_fma_f32 v142, 0xbf59a7d5, v29, -v137
	v_mul_f32_e32 v144, 0x3f2c7751, v61
	v_add_f32_e32 v135, v140, v135
	v_fmac_f32_e32 v139, 0x3dbcf732, v28
	v_fma_f32 v140, 0x3ee437d1, v52, -v141
	v_add_f32_e32 v134, v142, v134
	v_fma_f32 v142, 0x3f3d2fb0, v22, -v144
	v_mul_f32_e32 v145, 0xbf65296c, v58
	v_add_f32_e32 v135, v139, v135
	v_fmac_f32_e32 v138, 0x3f3d2fb0, v53
	v_add_f32_e32 v133, v140, v133
	v_add_f32_e32 v134, v142, v134
	v_fma_f32 v139, 0x3ee437d1, v23, -v145
	v_mul_f32_e32 v140, 0xbe3c28d5, v59
	v_add_f32_e32 v135, v138, v135
	v_fmac_f32_e32 v136, 0xbf7ba420, v56
	v_fmac_f32_e32 v143, 0xbe8c1d8e, v54
	v_add_f32_e32 v134, v139, v134
	v_fma_f32 v138, 0xbf7ba420, v28, -v140
	v_mul_f32_e32 v139, 0x3f7ee86f, v62
	v_add_f32_e32 v135, v136, v135
	v_add_f32_e32 v136, v4, v143
	v_fmac_f32_e32 v137, 0xbf59a7d5, v29
	v_add_f32_e32 v134, v138, v134
	v_fma_f32 v138, 0x3dbcf732, v53, -v139
	v_mul_f32_e32 v142, 0xbeb8f4ab, v63
	v_fmac_f32_e32 v141, 0x3ee437d1, v52
	v_add_f32_e32 v136, v137, v136
	v_fmac_f32_e32 v144, 0x3f3d2fb0, v22
	v_add_f32_e32 v134, v138, v134
	v_fma_f32 v137, 0x3f6eb680, v56, -v142
	v_mul_f32_e32 v138, 0xbf7ee86f, v57
	v_add_f32_e32 v135, v141, v135
	v_add_f32_e32 v136, v144, v136
	v_fmac_f32_e32 v145, 0x3ee437d1, v23
	v_add_f32_e32 v134, v137, v134
	v_mul_f32_e32 v137, 0xbf4c4adb, v65
	v_fma_f32 v141, 0x3dbcf732, v54, -v138
	v_mul_f32_e32 v143, 0xbe3c28d5, v60
	v_add_f32_e32 v136, v145, v136
	v_fmac_f32_e32 v140, 0xbf7ba420, v28
	v_fma_f32 v144, 0xbf1a4643, v52, -v137
	v_add_f32_e32 v141, v4, v141
	v_fma_f32 v145, 0xbf7ba420, v29, -v143
	v_mul_f32_e32 v146, 0x3f763a35, v61
	v_add_f32_e32 v136, v140, v136
	v_fmac_f32_e32 v139, 0x3dbcf732, v53
	v_add_f32_e32 v134, v144, v134
	v_add_f32_e32 v140, v145, v141
	v_fma_f32 v141, 0xbe8c1d8e, v22, -v146
	v_mul_f32_e32 v144, 0x3eb8f4ab, v58
	v_add_f32_e32 v136, v139, v136
	v_fmac_f32_e32 v142, 0x3f6eb680, v56
	v_fmac_f32_e32 v138, 0x3dbcf732, v54
	v_add_f32_e32 v139, v141, v140
	v_fma_f32 v140, 0x3f6eb680, v23, -v144
	v_mul_f32_e32 v141, 0xbf65296c, v59
	v_add_f32_e32 v136, v142, v136
	v_add_f32_e32 v138, v4, v138
	v_fmac_f32_e32 v143, 0xbf7ba420, v29
	v_add_f32_e32 v139, v140, v139
	v_fma_f32 v140, 0x3ee437d1, v28, -v141
	v_mul_f32_e32 v142, 0xbf06c442, v62
	v_fmac_f32_e32 v137, 0xbf1a4643, v52
	v_add_f32_e32 v138, v143, v138
	v_fmac_f32_e32 v146, 0xbe8c1d8e, v22
	v_add_f32_e32 v139, v140, v139
	v_fma_f32 v140, 0xbf59a7d5, v53, -v142
	v_mul_f32_e32 v143, 0x3f4c4adb, v63
	v_add_f32_e32 v136, v137, v136
	v_add_f32_e32 v137, v146, v138
	v_fmac_f32_e32 v144, 0x3f6eb680, v23
	v_add_f32_e32 v138, v140, v139
	v_fma_f32 v139, 0xbf1a4643, v56, -v143
	v_mul_f32_e32 v140, 0xbf65296c, v57
	v_fmac_f32_e32 v141, 0x3ee437d1, v28
	v_add_f32_e32 v137, v144, v137
	v_mul_f32_e32 v144, 0xbf4c4adb, v60
	v_add_f32_e32 v138, v139, v138
	v_fma_f32 v139, 0x3ee437d1, v54, -v140
	v_mul_f32_e32 v145, 0x3f2c7751, v65
	v_add_f32_e32 v137, v141, v137
	v_fmac_f32_e32 v142, 0xbf59a7d5, v53
	v_fma_f32 v141, 0xbf1a4643, v29, -v144
	v_add_f32_e32 v139, v4, v139
	v_mul_f32_e32 v147, 0x3e3c28d5, v61
	v_fma_f32 v146, 0x3f3d2fb0, v52, -v145
	v_add_f32_e32 v137, v142, v137
	v_fmac_f32_e32 v140, 0x3ee437d1, v54
	v_add_f32_e32 v139, v141, v139
	v_fma_f32 v141, 0xbf7ba420, v22, -v147
	v_mul_f32_e32 v142, 0x3f763a35, v58
	v_add_f32_e32 v138, v146, v138
	v_fmac_f32_e32 v143, 0xbf1a4643, v56
	v_add_f32_e32 v140, v4, v140
	v_fmac_f32_e32 v144, 0xbf1a4643, v29
	v_add_f32_e32 v139, v141, v139
	v_fma_f32 v141, 0xbe8c1d8e, v23, -v142
	v_mul_f32_e32 v146, 0x3f2c7751, v59
	v_add_f32_e32 v137, v143, v137
	v_add_f32_e32 v140, v144, v140
	v_fmac_f32_e32 v147, 0xbf7ba420, v22
	v_add_f32_e32 v139, v141, v139
	v_fma_f32 v141, 0x3f3d2fb0, v28, -v146
	v_mul_f32_e32 v143, 0xbeb8f4ab, v62
	v_fmac_f32_e32 v142, 0xbe8c1d8e, v23
	v_add_f32_e32 v140, v147, v140
	v_mul_f32_e32 v144, 0xbf7ee86f, v63
	v_add_f32_e32 v139, v141, v139
	v_fma_f32 v141, 0x3f6eb680, v53, -v143
	v_fmac_f32_e32 v146, 0x3f3d2fb0, v28
	v_add_f32_e32 v140, v142, v140
	v_mul_f32_e32 v142, 0xbf2c7751, v57
	v_fmac_f32_e32 v145, 0x3f3d2fb0, v52
	v_add_f32_e32 v139, v141, v139
	v_fma_f32 v141, 0x3dbcf732, v56, -v144
	v_add_f32_e32 v140, v146, v140
	v_fmac_f32_e32 v143, 0x3f6eb680, v53
	v_mul_f32_e32 v146, 0xbf7ee86f, v60
	v_add_f32_e32 v137, v145, v137
	v_add_f32_e32 v139, v141, v139
	v_fma_f32 v141, 0x3f3d2fb0, v54, -v142
	v_mul_f32_e32 v145, 0xbf06c442, v65
	v_add_f32_e32 v140, v143, v140
	v_fmac_f32_e32 v144, 0x3dbcf732, v56
	v_fma_f32 v143, 0x3dbcf732, v29, -v146
	v_add_f32_e32 v141, v4, v141
	v_mul_f32_e32 v148, 0xbf4c4adb, v61
	v_fma_f32 v147, 0xbf59a7d5, v52, -v145
	v_add_f32_e32 v140, v144, v140
	v_mul_f32_e32 v144, 0xbe3c28d5, v58
	v_add_f32_e32 v141, v143, v141
	v_fma_f32 v143, 0xbf1a4643, v22, -v148
	v_add_f32_e32 v139, v147, v139
	v_fmac_f32_e32 v145, 0xbf59a7d5, v52
	v_mul_f32_e32 v147, 0x3f06c442, v59
	v_fmac_f32_e32 v142, 0x3f3d2fb0, v54
	v_add_f32_e32 v141, v143, v141
	v_fma_f32 v143, 0xbf7ba420, v23, -v144
	v_add_f32_e32 v140, v145, v140
	v_add_f32_e32 v145, v4, v76
	;; [unrolled: 1-line block ×3, first 2 shown]
	v_fmac_f32_e32 v146, 0x3dbcf732, v29
	v_add_f32_e32 v141, v143, v141
	v_fma_f32 v143, 0xbf59a7d5, v28, -v147
	v_fmac_f32_e32 v148, 0xbf1a4643, v22
	v_fmac_f32_e32 v144, 0xbf7ba420, v23
	v_add_f32_e32 v142, v146, v142
	v_mul_f32_e32 v146, 0x3f763a35, v62
	v_add_f32_e32 v141, v143, v141
	v_add_f32_e32 v143, v145, v75
	v_fmac_f32_e32 v147, 0xbf59a7d5, v28
	v_add_f32_e32 v142, v148, v142
	v_fma_f32 v145, 0xbe8c1d8e, v53, -v146
	v_mul_f32_e32 v148, 0x3f65296c, v63
	v_add_f32_e32 v143, v143, v72
	v_fmac_f32_e32 v146, 0xbe8c1d8e, v53
	v_add_f32_e32 v142, v144, v142
	v_mul_f32_e32 v57, 0xbeb8f4ab, v57
	v_fma_f32 v144, 0x3ee437d1, v56, -v148
	v_add_f32_e32 v143, v143, v71
	v_fmac_f32_e32 v148, 0x3ee437d1, v56
	v_add_f32_e32 v142, v147, v142
	v_mul_f32_e32 v60, 0xbf2c7751, v60
	v_mul_f32_e32 v61, 0xbf65296c, v61
	v_add_f32_e32 v143, v143, v69
	v_mul_f32_e32 v58, 0xbf7ee86f, v58
	v_add_f32_e32 v142, v146, v142
	v_fma_f32 v146, 0x3f6eb680, v54, -v57
	v_fmac_f32_e32 v57, 0x3f6eb680, v54
	v_add_f32_e32 v143, v143, v67
	v_mul_f32_e32 v59, 0xbf763a35, v59
	v_add_f32_e32 v54, v148, v142
	v_fma_f32 v142, 0x3f3d2fb0, v29, -v60
	v_add_f32_e32 v57, v4, v57
	v_add_f32_e32 v143, v143, v9
	v_fmac_f32_e32 v60, 0x3f3d2fb0, v29
	v_fma_f32 v29, 0x3ee437d1, v22, -v61
	v_fmac_f32_e32 v61, 0x3ee437d1, v22
	v_add_f32_e32 v4, v4, v146
	v_add_f32_e32 v143, v143, v3
	;; [unrolled: 1-line block ×3, first 2 shown]
	v_fma_f32 v60, 0x3dbcf732, v23, -v58
	v_fmac_f32_e32 v58, 0x3dbcf732, v23
	v_add_f32_e32 v4, v142, v4
	v_add_f32_e32 v22, v143, v7
	;; [unrolled: 1-line block ×3, first 2 shown]
	v_fma_f32 v23, 0xbe8c1d8e, v28, -v59
	v_fmac_f32_e32 v59, 0xbe8c1d8e, v28
	v_add_f32_e32 v4, v29, v4
	v_add_f32_e32 v22, v22, v15
	v_mul_f32_e32 v29, 0xbf4c4adb, v62
	v_add_f32_e32 v57, v58, v57
	v_mul_f32_e32 v58, 0xbf06c442, v63
	v_add_f32_e32 v4, v60, v4
	v_add_f32_e32 v22, v22, v68
	v_fma_f32 v28, 0xbf1a4643, v53, -v29
	v_add_f32_e32 v57, v59, v57
	v_fmac_f32_e32 v29, 0xbf1a4643, v53
	v_add_f32_e32 v4, v23, v4
	v_add_f32_e32 v22, v22, v70
	v_fma_f32 v23, 0xbf59a7d5, v56, -v58
	v_mul_f32_e32 v53, 0xbe3c28d5, v65
	v_add_f32_e32 v29, v29, v57
	v_fmac_f32_e32 v58, 0xbf59a7d5, v56
	v_add_f32_e32 v22, v22, v66
	v_lshlrev_b32_sdwa v21, v21, v103 dst_sel:DWORD dst_unused:UNUSED_PAD src0_sel:DWORD src1_sel:BYTE_0
	v_add_f32_e32 v141, v145, v141
	v_mul_f32_e32 v145, 0x3eb8f4ab, v65
	v_add_f32_e32 v4, v28, v4
	v_add_f32_e32 v22, v22, v73
	v_fma_f32 v28, 0xbf7ba420, v52, -v53
	v_add_f32_e32 v29, v58, v29
	v_fmac_f32_e32 v53, 0xbf7ba420, v52
	v_add3_u32 v21, 0, v21, v122
	v_add_f32_e32 v22, v22, v77
	v_add_f32_e32 v141, v144, v141
	v_fma_f32 v144, 0x3f6eb680, v52, -v145
	v_fmac_f32_e32 v145, 0x3f6eb680, v52
	v_add_f32_e32 v4, v23, v4
	v_add_f32_e32 v23, v53, v29
	;; [unrolled: 1-line block ×3, first 2 shown]
	v_add_nc_u32_e32 v29, 0x400, v21
	v_add_f32_e32 v52, v145, v54
	v_add_nc_u32_e32 v54, 0x800, v21
	v_add_f32_e32 v53, v144, v141
	v_add_f32_e32 v4, v28, v4
	ds_write2_b32 v29, v22, v23 offset0:220 offset1:227
	ds_write2_b32 v29, v52, v140 offset0:234 offset1:241
	;; [unrolled: 1-line block ×8, first 2 shown]
	ds_write_b32 v21, v4 offset:2352
.LBB0_16:
	s_or_b32 exec_lo, exec_lo, s1
	v_add_f32_e32 v4, v104, v129
	v_add_f32_e32 v21, v129, v120
	v_sub_f32_e32 v22, v128, v127
	v_add_f32_e32 v23, v126, v123
	v_sub_f32_e32 v28, v125, v124
	v_add_f32_e32 v4, v4, v126
	v_mul_f32_e32 v29, 0x3f6eb680, v21
	v_mul_f32_e32 v53, 0x3ee437d1, v21
	;; [unrolled: 1-line block ×4, first 2 shown]
	v_add_f32_e32 v4, v4, v113
	v_mul_f32_e32 v56, 0xbe8c1d8e, v21
	v_mul_f32_e32 v57, 0xbf1a4643, v21
	;; [unrolled: 1-line block ×4, first 2 shown]
	v_add_f32_e32 v4, v4, v109
	v_mul_f32_e32 v59, 0x3f3d2fb0, v23
	v_mul_f32_e32 v61, 0xbf1a4643, v23
	v_fmamk_f32 v64, v22, 0x3eb8f4ab, v29
	v_fmamk_f32 v124, v22, 0x3f65296c, v53
	v_add_f32_e32 v4, v4, v107
	v_fmac_f32_e32 v53, 0xbf65296c, v22
	v_mul_f32_e32 v60, 0x3dbcf732, v23
	v_mul_f32_e32 v62, 0xbf7ba420, v23
	v_fmac_f32_e32 v29, 0xbeb8f4ab, v22
	v_add_f32_e32 v4, v4, v100
	v_fmamk_f32 v65, v22, 0x3f2c7751, v52
	v_fmac_f32_e32 v52, 0xbf2c7751, v22
	v_fmamk_f32 v125, v22, 0x3f7ee86f, v54
	v_fmac_f32_e32 v54, 0xbf7ee86f, v22
	v_add_f32_e32 v4, v4, v94
	v_fmamk_f32 v126, v22, 0x3f763a35, v56
	v_fmac_f32_e32 v56, 0xbf763a35, v22
	v_fmamk_f32 v127, v22, 0x3f4c4adb, v57
	;; [unrolled: 5-line block ×3, first 2 shown]
	v_fmac_f32_e32 v21, 0xbe3c28d5, v22
	v_fmamk_f32 v22, v28, 0x3f2c7751, v59
	v_fmamk_f32 v131, v28, 0x3f4c4adb, v61
	v_fmac_f32_e32 v61, 0xbf4c4adb, v28
	v_add_f32_e32 v64, v104, v64
	v_add_f32_e32 v53, v104, v53
	v_mul_f32_e32 v63, 0xbf59a7d5, v23
	v_add_f32_e32 v4, v4, v91
	v_fmac_f32_e32 v59, 0xbf2c7751, v28
	v_fmamk_f32 v130, v28, 0x3f7ee86f, v60
	v_add_f32_e32 v29, v104, v29
	v_add_f32_e32 v65, v104, v65
	;; [unrolled: 1-line block ×4, first 2 shown]
	v_fmamk_f32 v64, v28, 0x3e3c28d5, v62
	v_add_f32_e32 v53, v61, v53
	v_fmac_f32_e32 v62, 0xbe3c28d5, v28
	v_mul_f32_e32 v61, 0xbe8c1d8e, v23
	v_add_f32_e32 v4, v4, v99
	v_add_f32_e32 v56, v104, v56
	;; [unrolled: 1-line block ×5, first 2 shown]
	v_fmamk_f32 v65, v28, 0xbf06c442, v63
	v_fmac_f32_e32 v63, 0x3f06c442, v28
	v_add_f32_e32 v54, v62, v54
	v_fmamk_f32 v62, v28, 0xbf763a35, v61
	v_fmac_f32_e32 v61, 0x3f763a35, v28
	v_add_f32_e32 v4, v4, v111
	v_add_f32_e32 v56, v63, v56
	v_mul_f32_e32 v63, 0x3ee437d1, v23
	v_mul_f32_e32 v23, 0x3f6eb680, v23
	v_add_f32_e32 v57, v61, v57
	v_add_f32_e32 v61, v113, v119
	;; [unrolled: 1-line block ×12, first 2 shown]
	v_fmamk_f32 v104, v28, 0xbf65296c, v63
	v_fmac_f32_e32 v63, 0x3f65296c, v28
	v_fmamk_f32 v113, v28, 0xbeb8f4ab, v23
	v_sub_f32_e32 v112, v112, v118
	v_mul_f32_e32 v118, 0x3ee437d1, v61
	v_fmac_f32_e32 v23, 0x3eb8f4ab, v28
	v_fmac_f32_e32 v60, 0xbf7ee86f, v28
	v_add_f32_e32 v4, v4, v117
	v_add_f32_e32 v28, v63, v58
	;; [unrolled: 1-line block ×3, first 2 shown]
	v_fmamk_f32 v63, v112, 0x3f65296c, v118
	v_mul_f32_e32 v113, 0xbf1a4643, v61
	v_add_f32_e32 v21, v23, v21
	v_fmac_f32_e32 v118, 0xbf65296c, v112
	v_mul_f32_e32 v23, 0xbf7ba420, v61
	v_add_f32_e32 v4, v4, v119
	v_add_f32_e32 v52, v60, v52
	;; [unrolled: 1-line block ×3, first 2 shown]
	v_fmamk_f32 v63, v112, 0x3f4c4adb, v113
	v_fmac_f32_e32 v113, 0xbf4c4adb, v112
	v_add_f32_e32 v29, v118, v29
	v_fmamk_f32 v118, v112, 0xbe3c28d5, v23
	v_mul_f32_e32 v119, 0xbe8c1d8e, v61
	v_fmac_f32_e32 v23, 0x3e3c28d5, v112
	v_add_f32_e32 v60, v131, v124
	v_add_f32_e32 v64, v64, v125
	v_add_f32_e32 v59, v63, v59
	v_add_f32_e32 v52, v113, v52
	v_fmamk_f32 v63, v112, 0xbf763a35, v119
	v_mul_f32_e32 v113, 0x3f3d2fb0, v61
	v_fmac_f32_e32 v119, 0x3f763a35, v112
	v_add_f32_e32 v23, v23, v53
	v_mul_f32_e32 v53, 0x3f6eb680, v61
	v_add_f32_e32 v65, v65, v126
	v_add_f32_e32 v60, v118, v60
	;; [unrolled: 1-line block ×3, first 2 shown]
	v_fmamk_f32 v64, v112, 0xbf2c7751, v113
	v_add_f32_e32 v54, v119, v54
	v_fmamk_f32 v118, v112, 0x3eb8f4ab, v53
	v_mul_f32_e32 v119, 0x3dbcf732, v61
	v_fmac_f32_e32 v53, 0xbeb8f4ab, v112
	v_add_f32_e32 v104, v104, v128
	v_add_f32_e32 v64, v64, v65
	v_mul_f32_e32 v61, 0xbf59a7d5, v61
	v_fmamk_f32 v65, v112, 0x3f7ee86f, v119
	v_add_f32_e32 v53, v53, v57
	v_add_f32_e32 v57, v109, v117
	v_sub_f32_e32 v108, v108, v116
	v_fmac_f32_e32 v113, 0x3f2c7751, v112
	v_add_f32_e32 v65, v65, v104
	v_fmamk_f32 v104, v112, 0x3f06c442, v61
	v_mul_f32_e32 v109, 0x3dbcf732, v57
	v_fmac_f32_e32 v61, 0xbf06c442, v112
	v_fmac_f32_e32 v119, 0xbf7ee86f, v112
	v_add_f32_e32 v56, v113, v56
	v_add_f32_e32 v58, v104, v58
	v_mul_f32_e32 v104, 0xbf7ba420, v57
	v_fmamk_f32 v112, v108, 0x3f7ee86f, v109
	v_fmac_f32_e32 v109, 0xbf7ee86f, v108
	v_add_f32_e32 v21, v61, v21
	v_mul_f32_e32 v61, 0xbe8c1d8e, v57
	v_fmamk_f32 v113, v108, 0x3e3c28d5, v104
	v_add_f32_e32 v22, v112, v22
	v_add_f32_e32 v29, v109, v29
	v_fmac_f32_e32 v104, 0xbe3c28d5, v108
	v_fmamk_f32 v109, v108, 0xbf763a35, v61
	v_mul_f32_e32 v112, 0x3f6eb680, v57
	v_fmac_f32_e32 v61, 0x3f763a35, v108
	v_add_f32_e32 v62, v62, v127
	v_add_f32_e32 v52, v104, v52
	;; [unrolled: 1-line block ×3, first 2 shown]
	v_mul_f32_e32 v104, 0x3ee437d1, v57
	v_fmamk_f32 v109, v108, 0xbeb8f4ab, v112
	v_add_f32_e32 v23, v61, v23
	v_mul_f32_e32 v61, 0xbf59a7d5, v57
	v_add_f32_e32 v59, v113, v59
	v_fmamk_f32 v113, v108, 0x3f65296c, v104
	v_add_f32_e32 v63, v109, v63
	v_fmac_f32_e32 v104, 0xbf65296c, v108
	v_fmamk_f32 v109, v108, 0x3f06c442, v61
	v_fmac_f32_e32 v61, 0xbf06c442, v108
	v_add_f32_e32 v62, v118, v62
	v_fmac_f32_e32 v112, 0x3eb8f4ab, v108
	v_add_f32_e32 v56, v104, v56
	v_mul_f32_e32 v104, 0xbf1a4643, v57
	v_mul_f32_e32 v57, 0x3f3d2fb0, v57
	v_add_f32_e32 v53, v61, v53
	v_add_f32_e32 v61, v107, v115
	;; [unrolled: 1-line block ×5, first 2 shown]
	v_fmamk_f32 v107, v108, 0xbf4c4adb, v104
	v_fmac_f32_e32 v104, 0x3f4c4adb, v108
	v_fmamk_f32 v109, v108, 0xbf2c7751, v57
	v_sub_f32_e32 v106, v106, v114
	v_mul_f32_e32 v112, 0xbe8c1d8e, v61
	v_fmac_f32_e32 v57, 0x3f2c7751, v108
	v_add_f32_e32 v65, v107, v65
	v_add_f32_e32 v28, v104, v28
	v_mul_f32_e32 v107, 0xbf59a7d5, v61
	v_fmamk_f32 v104, v106, 0x3f763a35, v112
	v_add_f32_e32 v21, v57, v21
	v_mul_f32_e32 v57, 0x3f3d2fb0, v61
	v_add_f32_e32 v58, v109, v58
	v_mul_f32_e32 v109, 0x3ee437d1, v61
	v_add_f32_e32 v22, v104, v22
	v_fmamk_f32 v104, v106, 0xbf06c442, v107
	v_fmac_f32_e32 v107, 0x3f06c442, v106
	v_fmamk_f32 v108, v106, 0xbf2c7751, v57
	v_fmac_f32_e32 v57, 0x3f2c7751, v106
	v_add_f32_e32 v64, v113, v64
	v_add_f32_e32 v59, v104, v59
	;; [unrolled: 1-line block ×3, first 2 shown]
	v_fmamk_f32 v104, v106, 0x3f65296c, v109
	v_mul_f32_e32 v107, 0xbf7ba420, v61
	v_add_f32_e32 v23, v57, v23
	v_mul_f32_e32 v57, 0x3dbcf732, v61
	v_add_f32_e32 v60, v108, v60
	v_add_f32_e32 v63, v104, v63
	v_fmamk_f32 v104, v106, 0x3e3c28d5, v107
	v_fmac_f32_e32 v107, 0xbe3c28d5, v106
	v_fmamk_f32 v108, v106, 0xbf7ee86f, v57
	v_fmac_f32_e32 v57, 0x3f7ee86f, v106
	v_sub_f32_e32 v105, v105, v110
	v_add_f32_e32 v64, v104, v64
	v_mul_f32_e32 v104, 0x3f6eb680, v61
	v_add_f32_e32 v56, v107, v56
	v_add_f32_e32 v53, v57, v53
	;; [unrolled: 1-line block ×3, first 2 shown]
	v_mul_f32_e32 v61, 0xbf1a4643, v61
	v_fmamk_f32 v100, v106, 0x3eb8f4ab, v104
	v_fmac_f32_e32 v104, 0xbeb8f4ab, v106
	v_fmac_f32_e32 v112, 0xbf763a35, v106
	v_mul_f32_e32 v107, 0xbf1a4643, v57
	v_add_f32_e32 v62, v108, v62
	v_fmamk_f32 v108, v106, 0x3f4c4adb, v61
	v_add_f32_e32 v65, v100, v65
	v_fmac_f32_e32 v61, 0xbf4c4adb, v106
	v_add_f32_e32 v28, v104, v28
	v_fmamk_f32 v100, v105, 0x3f4c4adb, v107
	v_mul_f32_e32 v104, 0xbe8c1d8e, v57
	v_add_f32_e32 v29, v112, v29
	v_fmac_f32_e32 v109, 0xbf65296c, v106
	v_add_f32_e32 v21, v61, v21
	v_fmac_f32_e32 v107, 0xbf4c4adb, v105
	v_add_f32_e32 v22, v100, v22
	v_mul_f32_e32 v61, 0x3f6eb680, v57
	v_fmamk_f32 v100, v105, 0xbf763a35, v104
	v_mul_f32_e32 v106, 0xbf59a7d5, v57
	v_add_f32_e32 v29, v107, v29
	v_fmac_f32_e32 v104, 0x3f763a35, v105
	v_fmamk_f32 v107, v105, 0x3eb8f4ab, v61
	v_add_f32_e32 v59, v100, v59
	v_fmac_f32_e32 v61, 0xbeb8f4ab, v105
	v_fmamk_f32 v100, v105, 0x3f06c442, v106
	v_add_f32_e32 v54, v109, v54
	v_add_f32_e32 v52, v104, v52
	;; [unrolled: 1-line block ×5, first 2 shown]
	v_mul_f32_e32 v63, 0x3f3d2fb0, v57
	v_fmac_f32_e32 v106, 0xbf06c442, v105
	v_mul_f32_e32 v104, 0x3dbcf732, v57
	v_add_f32_e32 v58, v108, v58
	v_sub_f32_e32 v51, v51, v83
	v_fmamk_f32 v107, v105, 0x3f2c7751, v63
	v_fmac_f32_e32 v63, 0xbf2c7751, v105
	v_add_f32_e32 v54, v106, v54
	v_fmamk_f32 v100, v105, 0xbf7ee86f, v104
	v_mul_f32_e32 v106, 0xbf7ba420, v57
	v_mul_f32_e32 v57, 0x3ee437d1, v57
	v_add_f32_e32 v53, v63, v53
	v_add_f32_e32 v63, v94, v99
	;; [unrolled: 1-line block ×3, first 2 shown]
	v_fmamk_f32 v100, v105, 0x3e3c28d5, v106
	v_sub_f32_e32 v94, v98, v95
	v_fmamk_f32 v98, v105, 0xbf65296c, v57
	v_mul_f32_e32 v95, 0xbf59a7d5, v63
	v_fmac_f32_e32 v57, 0x3f65296c, v105
	v_mul_f32_e32 v99, 0x3ee437d1, v63
	v_add_f32_e32 v65, v100, v65
	v_add_f32_e32 v58, v98, v58
	v_fmamk_f32 v100, v94, 0x3f06c442, v95
	v_add_f32_e32 v21, v57, v21
	v_fmac_f32_e32 v95, 0xbf06c442, v94
	v_fmamk_f32 v57, v94, 0xbf65296c, v99
	v_mul_f32_e32 v98, 0x3dbcf732, v63
	v_fmac_f32_e32 v99, 0x3f65296c, v94
	v_fmac_f32_e32 v104, 0x3f7ee86f, v105
	v_add_f32_e32 v29, v95, v29
	v_add_f32_e32 v57, v57, v59
	v_mul_f32_e32 v59, 0xbf1a4643, v63
	v_fmamk_f32 v95, v94, 0x3f7ee86f, v98
	v_add_f32_e32 v52, v99, v52
	v_mul_f32_e32 v99, 0x3f6eb680, v63
	v_add_f32_e32 v22, v100, v22
	v_fmamk_f32 v100, v94, 0xbf4c4adb, v59
	v_add_f32_e32 v60, v95, v60
	v_fmac_f32_e32 v59, 0x3f4c4adb, v94
	v_fmamk_f32 v95, v94, 0x3eb8f4ab, v99
	v_add_f32_e32 v56, v104, v56
	v_fmac_f32_e32 v98, 0xbf7ee86f, v94
	v_add_f32_e32 v61, v100, v61
	v_add_f32_e32 v54, v59, v54
	;; [unrolled: 1-line block ×3, first 2 shown]
	v_mul_f32_e32 v64, 0x3f3d2fb0, v63
	v_fmac_f32_e32 v99, 0xbeb8f4ab, v94
	v_add_f32_e32 v100, v2, v50
	v_add_f32_e32 v98, v98, v23
	v_mul_f32_e32 v23, 0xbf7ba420, v63
	v_fmamk_f32 v104, v94, 0xbf2c7751, v64
	v_add_f32_e32 v99, v99, v56
	v_add_f32_e32 v56, v100, v30
	v_fmac_f32_e32 v106, 0xbe3c28d5, v105
	v_fmamk_f32 v95, v94, 0x3e3c28d5, v23
	v_fmac_f32_e32 v23, 0xbe3c28d5, v94
	v_add_f32_e32 v100, v104, v65
	v_add_f32_e32 v104, v92, v91
	;; [unrolled: 1-line block ×5, first 2 shown]
	v_mul_f32_e32 v23, 0xbe8c1d8e, v63
	v_fmac_f32_e32 v64, 0x3f2c7751, v94
	v_sub_f32_e32 v63, v97, v82
	v_mul_f32_e32 v65, 0xbf7ba420, v104
	v_add_f32_e32 v56, v56, v89
	v_fmamk_f32 v82, v94, 0x3f763a35, v23
	v_add_f32_e32 v64, v64, v28
	v_fmac_f32_e32 v23, 0xbf763a35, v94
	v_fmamk_f32 v28, v63, 0x3e3c28d5, v65
	v_add_f32_e32 v56, v56, v87
	v_fmac_f32_e32 v65, 0xbe3c28d5, v63
	v_add_f32_e32 v58, v82, v58
	v_add_f32_e32 v105, v23, v21
	;; [unrolled: 1-line block ×5, first 2 shown]
	v_mul_f32_e32 v23, 0x3f6eb680, v104
	v_mul_f32_e32 v82, 0xbf59a7d5, v104
	v_add_f32_e32 v62, v107, v62
	v_add_f32_e32 v29, v28, v46
	;; [unrolled: 1-line block ×3, first 2 shown]
	v_fmamk_f32 v56, v63, 0xbeb8f4ab, v23
	v_fmac_f32_e32 v23, 0x3eb8f4ab, v63
	v_fmamk_f32 v65, v63, 0x3f06c442, v82
	v_add_f32_e32 v29, v29, v44
	v_fmac_f32_e32 v82, 0xbf06c442, v63
	v_add_f32_e32 v28, v56, v57
	v_add_f32_e32 v23, v23, v52
	v_mul_f32_e32 v52, 0x3f3d2fb0, v104
	v_add_f32_e32 v29, v29, v33
	v_add_f32_e32 v56, v65, v60
	v_mul_f32_e32 v57, 0xbf1a4643, v104
	v_add_f32_e32 v65, v82, v98
	v_fmamk_f32 v60, v63, 0xbf2c7751, v52
	v_add_f32_e32 v29, v29, v39
	v_fmac_f32_e32 v52, 0x3f2c7751, v63
	v_fmamk_f32 v92, v63, 0x3f4c4adb, v57
	v_add_f32_e32 v62, v95, v62
	v_fmac_f32_e32 v57, 0xbf4c4adb, v63
	v_add_f32_e32 v29, v29, v38
	v_add_f32_e32 v82, v52, v54
	v_mul_f32_e32 v52, 0x3ee437d1, v104
	v_add_f32_e32 v92, v92, v59
	v_mul_f32_e32 v54, 0xbe8c1d8e, v104
	v_add_f32_e32 v29, v29, v36
	v_add_f32_e32 v94, v57, v99
	v_fmamk_f32 v59, v63, 0xbf65296c, v52
	v_fmac_f32_e32 v52, 0x3f65296c, v63
	v_fmamk_f32 v57, v63, 0x3f763a35, v54
	v_add_f32_e32 v29, v29, v34
	v_add_f32_e32 v91, v60, v61
	;; [unrolled: 1-line block ×4, first 2 shown]
	v_mul_f32_e32 v52, 0x3dbcf732, v104
	v_add_f32_e32 v29, v29, v32
	v_mul_f32_e32 v104, 0xbf59a7d5, v50
	v_add_f32_e32 v98, v57, v100
	v_fmac_f32_e32 v54, 0xbf763a35, v63
	v_fmamk_f32 v53, v63, 0xbf7ee86f, v52
	v_fmac_f32_e32 v52, 0x3f7ee86f, v63
	v_add_f32_e32 v29, v29, v48
	v_mul_f32_e32 v57, 0x3f6eb680, v50
	v_mul_f32_e32 v59, 0x3dbcf732, v50
	v_add_f32_e32 v99, v53, v58
	v_add_f32_e32 v100, v52, v105
	v_mul_f32_e32 v53, 0x3f3d2fb0, v50
	v_add_f32_e32 v93, v29, v93
	v_mul_f32_e32 v29, 0x3ee437d1, v50
	v_mul_f32_e32 v61, 0xbe8c1d8e, v50
	;; [unrolled: 1-line block ×3, first 2 shown]
	v_fmamk_f32 v105, v51, 0x3f06c442, v104
	v_mul_f32_e32 v50, 0xbf7ba420, v50
	v_add_f32_e32 v30, v30, v48
	v_add_f32_e32 v83, v54, v64
	v_fmamk_f32 v52, v51, 0x3eb8f4ab, v57
	v_fmac_f32_e32 v57, 0xbeb8f4ab, v51
	v_fmamk_f32 v54, v51, 0x3f2c7751, v53
	v_fmac_f32_e32 v53, 0xbf2c7751, v51
	;; [unrolled: 2-line block ×6, first 2 shown]
	v_fmac_f32_e32 v104, 0xbf06c442, v51
	v_add_f32_e32 v48, v2, v105
	v_fmamk_f32 v105, v51, 0x3e3c28d5, v50
	v_sub_f32_e32 v45, v45, v49
	v_mul_f32_e32 v49, 0x3f3d2fb0, v30
	v_fmac_f32_e32 v50, 0xbe3c28d5, v51
	v_add_f32_e32 v52, v2, v52
	v_add_f32_e32 v57, v2, v57
	;; [unrolled: 1-line block ×14, first 2 shown]
	v_fmamk_f32 v106, v45, 0x3f2c7751, v49
	v_fmac_f32_e32 v49, 0xbf2c7751, v45
	v_add_f32_e32 v2, v2, v50
	v_mul_f32_e32 v50, 0xbf1a4643, v30
	v_mul_f32_e32 v105, 0x3dbcf732, v30
	v_add_f32_e32 v52, v106, v52
	v_add_f32_e32 v49, v49, v57
	v_mul_f32_e32 v106, 0xbf7ba420, v30
	v_fmamk_f32 v57, v45, 0x3f4c4adb, v50
	v_fmamk_f32 v107, v45, 0x3f7ee86f, v105
	v_fmac_f32_e32 v105, 0xbf7ee86f, v45
	v_fmac_f32_e32 v50, 0xbf4c4adb, v45
	v_add_f32_e32 v32, v96, v32
	v_add_f32_e32 v57, v57, v58
	v_mul_f32_e32 v58, 0xbf59a7d5, v30
	v_add_f32_e32 v54, v107, v54
	v_add_f32_e32 v53, v105, v53
	v_fmamk_f32 v105, v45, 0x3e3c28d5, v106
	v_add_f32_e32 v29, v50, v29
	v_mul_f32_e32 v50, 0xbe8c1d8e, v30
	v_fmamk_f32 v107, v45, 0xbf06c442, v58
	v_fmac_f32_e32 v58, 0x3f06c442, v45
	v_add_f32_e32 v60, v105, v60
	v_sub_f32_e32 v43, v90, v43
	v_fmamk_f32 v105, v45, 0xbf763a35, v50
	v_fmac_f32_e32 v50, 0x3f763a35, v45
	v_add_f32_e32 v58, v58, v61
	v_mul_f32_e32 v61, 0x3ee437d1, v30
	v_mul_f32_e32 v30, 0x3f6eb680, v30
	;; [unrolled: 1-line block ×3, first 2 shown]
	v_add_f32_e32 v50, v50, v62
	v_fmac_f32_e32 v106, 0xbe3c28d5, v45
	v_fmamk_f32 v62, v45, 0xbf65296c, v61
	v_fmac_f32_e32 v61, 0x3f65296c, v45
	v_fmamk_f32 v96, v45, 0xbeb8f4ab, v30
	v_fmac_f32_e32 v30, 0x3eb8f4ab, v45
	v_add_f32_e32 v59, v106, v59
	v_add_f32_e32 v48, v62, v48
	;; [unrolled: 1-line block ×3, first 2 shown]
	v_fmamk_f32 v61, v43, 0x3f65296c, v90
	v_mul_f32_e32 v62, 0xbf1a4643, v32
	v_add_f32_e32 v51, v96, v51
	v_add_f32_e32 v2, v30, v2
	v_fmac_f32_e32 v90, 0xbf65296c, v43
	v_mul_f32_e32 v30, 0xbf7ba420, v32
	v_add_f32_e32 v52, v61, v52
	v_fmamk_f32 v61, v43, 0x3f4c4adb, v62
	v_fmac_f32_e32 v62, 0xbf4c4adb, v43
	v_mul_f32_e32 v96, 0xbe8c1d8e, v32
	v_add_f32_e32 v49, v90, v49
	v_fmamk_f32 v90, v43, 0xbe3c28d5, v30
	v_add_f32_e32 v54, v61, v54
	v_add_f32_e32 v53, v62, v53
	v_fmac_f32_e32 v30, 0x3e3c28d5, v43
	v_fmamk_f32 v61, v43, 0xbf763a35, v96
	v_mul_f32_e32 v62, 0x3f3d2fb0, v32
	v_fmac_f32_e32 v96, 0x3f763a35, v43
	v_add_f32_e32 v63, v107, v63
	v_add_f32_e32 v29, v30, v29
	v_mul_f32_e32 v30, 0x3f6eb680, v32
	v_add_f32_e32 v60, v61, v60
	v_fmamk_f32 v61, v43, 0xbf2c7751, v62
	v_add_f32_e32 v59, v96, v59
	v_mul_f32_e32 v96, 0x3dbcf732, v32
	v_add_f32_e32 v57, v90, v57
	v_fmamk_f32 v90, v43, 0x3eb8f4ab, v30
	v_add_f32_e32 v61, v61, v63
	v_fmac_f32_e32 v30, 0xbeb8f4ab, v43
	v_fmamk_f32 v63, v43, 0x3f7ee86f, v96
	v_mul_f32_e32 v32, 0xbf59a7d5, v32
	v_add_f32_e32 v34, v89, v34
	v_sub_f32_e32 v42, v88, v42
	v_add_f32_e32 v30, v30, v50
	v_add_f32_e32 v48, v63, v48
	v_fmamk_f32 v50, v43, 0x3f06c442, v32
	v_mul_f32_e32 v63, 0x3dbcf732, v34
	v_fmac_f32_e32 v32, 0xbf06c442, v43
	v_add_f32_e32 v64, v105, v64
	v_fmac_f32_e32 v62, 0x3f2c7751, v43
	v_fmac_f32_e32 v96, 0xbf7ee86f, v43
	v_add_f32_e32 v43, v50, v51
	v_mul_f32_e32 v50, 0xbf7ba420, v34
	v_fmamk_f32 v51, v42, 0x3f7ee86f, v63
	v_fmac_f32_e32 v63, 0xbf7ee86f, v42
	v_add_f32_e32 v2, v32, v2
	v_mul_f32_e32 v32, 0xbe8c1d8e, v34
	v_add_f32_e32 v58, v62, v58
	v_add_f32_e32 v62, v90, v64
	v_fmamk_f32 v64, v42, 0x3e3c28d5, v50
	v_add_f32_e32 v51, v51, v52
	v_add_f32_e32 v49, v63, v49
	v_fmac_f32_e32 v50, 0xbe3c28d5, v42
	v_fmamk_f32 v52, v42, 0xbf763a35, v32
	v_mul_f32_e32 v63, 0x3f6eb680, v34
	v_fmac_f32_e32 v32, 0x3f763a35, v42
	v_add_f32_e32 v54, v64, v54
	v_add_f32_e32 v50, v50, v53
	;; [unrolled: 1-line block ×3, first 2 shown]
	v_mul_f32_e32 v53, 0x3ee437d1, v34
	v_fmamk_f32 v57, v42, 0xbeb8f4ab, v63
	v_add_f32_e32 v29, v32, v29
	v_mul_f32_e32 v32, 0xbf59a7d5, v34
	v_fmac_f32_e32 v63, 0x3eb8f4ab, v42
	v_fmamk_f32 v64, v42, 0x3f65296c, v53
	v_add_f32_e32 v57, v57, v60
	v_fmac_f32_e32 v53, 0xbf65296c, v42
	v_fmamk_f32 v60, v42, 0x3f06c442, v32
	v_fmac_f32_e32 v32, 0xbf06c442, v42
	v_add_f32_e32 v45, v96, v45
	v_add_f32_e32 v59, v63, v59
	;; [unrolled: 1-line block ×3, first 2 shown]
	v_mul_f32_e32 v58, 0xbf1a4643, v34
	v_mul_f32_e32 v34, 0x3f3d2fb0, v34
	v_add_f32_e32 v30, v32, v30
	v_add_f32_e32 v32, v87, v36
	;; [unrolled: 1-line block ×3, first 2 shown]
	v_fmamk_f32 v36, v42, 0xbf4c4adb, v58
	v_fmac_f32_e32 v58, 0x3f4c4adb, v42
	v_fmamk_f32 v62, v42, 0xbf2c7751, v34
	v_sub_f32_e32 v40, v85, v40
	v_mul_f32_e32 v63, 0xbe8c1d8e, v32
	v_fmac_f32_e32 v34, 0x3f2c7751, v42
	v_add_f32_e32 v36, v36, v48
	v_add_f32_e32 v42, v58, v45
	v_mul_f32_e32 v48, 0xbf59a7d5, v32
	v_fmamk_f32 v45, v40, 0x3f763a35, v63
	v_add_f32_e32 v2, v34, v2
	v_mul_f32_e32 v34, 0x3f3d2fb0, v32
	v_add_f32_e32 v43, v62, v43
	v_mul_f32_e32 v62, 0x3ee437d1, v32
	v_add_f32_e32 v45, v45, v51
	v_fmamk_f32 v51, v40, 0xbf06c442, v48
	v_fmac_f32_e32 v48, 0x3f06c442, v40
	v_fmamk_f32 v58, v40, 0xbf2c7751, v34
	v_fmac_f32_e32 v34, 0x3f2c7751, v40
	v_fmac_f32_e32 v63, 0xbf763a35, v40
	v_add_f32_e32 v51, v51, v54
	v_add_f32_e32 v48, v48, v50
	;; [unrolled: 1-line block ×3, first 2 shown]
	v_fmamk_f32 v52, v40, 0x3f65296c, v62
	v_mul_f32_e32 v54, 0xbf7ba420, v32
	v_fmac_f32_e32 v62, 0xbf65296c, v40
	v_add_f32_e32 v29, v34, v29
	v_mul_f32_e32 v34, 0x3dbcf732, v32
	v_add_f32_e32 v52, v52, v57
	v_fmamk_f32 v57, v40, 0x3e3c28d5, v54
	v_add_f32_e32 v58, v62, v59
	v_fmac_f32_e32 v54, 0xbe3c28d5, v40
	v_fmamk_f32 v59, v40, 0xbf7ee86f, v34
	v_mul_f32_e32 v62, 0x3f6eb680, v32
	v_fmac_f32_e32 v34, 0x3f7ee86f, v40
	v_mul_f32_e32 v32, 0xbf1a4643, v32
	v_add_f32_e32 v53, v54, v53
	v_add_f32_e32 v54, v59, v60
	v_fmamk_f32 v59, v40, 0x3eb8f4ab, v62
	v_add_f32_e32 v30, v34, v30
	v_add_f32_e32 v34, v81, v38
	v_fmamk_f32 v38, v40, 0x3f4c4adb, v32
	v_sub_f32_e32 v41, v84, v41
	v_add_f32_e32 v36, v59, v36
	v_fmac_f32_e32 v32, 0xbf4c4adb, v40
	v_mul_f32_e32 v59, 0xbf1a4643, v34
	v_add_f32_e32 v49, v63, v49
	v_fmac_f32_e32 v62, 0xbeb8f4ab, v40
	v_add_f32_e32 v38, v38, v43
	v_mul_f32_e32 v40, 0xbe8c1d8e, v34
	v_fmamk_f32 v43, v41, 0x3f4c4adb, v59
	v_fmac_f32_e32 v59, 0xbf4c4adb, v41
	v_add_f32_e32 v2, v32, v2
	v_mul_f32_e32 v32, 0x3f6eb680, v34
	v_fmamk_f32 v60, v41, 0xbf763a35, v40
	v_add_f32_e32 v43, v43, v45
	v_add_f32_e32 v45, v59, v49
	v_fmac_f32_e32 v40, 0x3f763a35, v41
	v_fmamk_f32 v49, v41, 0x3eb8f4ab, v32
	v_mul_f32_e32 v59, 0xbf59a7d5, v34
	v_fmac_f32_e32 v32, 0xbeb8f4ab, v41
	v_add_f32_e32 v51, v60, v51
	v_add_f32_e32 v40, v40, v48
	;; [unrolled: 1-line block ×3, first 2 shown]
	v_mul_f32_e32 v49, 0x3dbcf732, v34
	v_fmamk_f32 v50, v41, 0x3f06c442, v59
	v_add_f32_e32 v29, v32, v29
	v_fmac_f32_e32 v59, 0xbf06c442, v41
	v_mul_f32_e32 v32, 0x3f3d2fb0, v34
	v_fmamk_f32 v60, v41, 0xbf7ee86f, v49
	v_add_f32_e32 v50, v50, v52
	v_fmac_f32_e32 v49, 0x3f7ee86f, v41
	v_add_f32_e32 v52, v59, v58
	v_fmamk_f32 v58, v41, 0x3f2c7751, v32
	v_fmac_f32_e32 v32, 0xbf2c7751, v41
	v_add_f32_e32 v42, v62, v42
	v_add_f32_e32 v49, v49, v53
	v_mul_f32_e32 v53, 0xbf7ba420, v34
	v_mul_f32_e32 v34, 0x3ee437d1, v34
	v_add_f32_e32 v30, v32, v30
	v_add_f32_e32 v32, v46, v39
	v_sub_f32_e32 v37, v47, v37
	v_fmamk_f32 v39, v41, 0x3e3c28d5, v53
	v_fmac_f32_e32 v53, 0xbe3c28d5, v41
	v_fmamk_f32 v46, v41, 0xbf65296c, v34
	v_mul_f32_e32 v47, 0xbf59a7d5, v32
	v_fmac_f32_e32 v34, 0x3f65296c, v41
	v_add_f32_e32 v36, v39, v36
	v_add_f32_e32 v39, v53, v42
	v_mul_f32_e32 v42, 0x3ee437d1, v32
	v_fmamk_f32 v41, v37, 0x3f06c442, v47
	v_add_f32_e32 v2, v34, v2
	v_fmac_f32_e32 v47, 0xbf06c442, v37
	v_mul_f32_e32 v34, 0x3dbcf732, v32
	v_add_f32_e32 v38, v46, v38
	v_add_f32_e32 v41, v41, v43
	v_fmamk_f32 v43, v37, 0xbf65296c, v42
	v_fmac_f32_e32 v42, 0x3f65296c, v37
	v_add_f32_e32 v45, v47, v45
	v_fmamk_f32 v46, v37, 0x3f7ee86f, v34
	v_mul_f32_e32 v47, 0xbf1a4643, v32
	v_fmac_f32_e32 v34, 0xbf7ee86f, v37
	v_add_f32_e32 v40, v42, v40
	v_add_f32_e32 v54, v58, v54
	;; [unrolled: 1-line block ×3, first 2 shown]
	v_fmamk_f32 v46, v37, 0xbf4c4adb, v47
	v_mul_f32_e32 v48, 0x3f6eb680, v32
	v_fmac_f32_e32 v47, 0x3f4c4adb, v37
	v_add_f32_e32 v29, v34, v29
	v_mul_f32_e32 v34, 0xbf7ba420, v32
	v_add_f32_e32 v43, v43, v51
	v_add_f32_e32 v46, v46, v50
	v_fmamk_f32 v50, v37, 0x3eb8f4ab, v48
	v_add_f32_e32 v47, v47, v52
	v_fmac_f32_e32 v48, 0xbeb8f4ab, v37
	v_fmamk_f32 v51, v37, 0x3e3c28d5, v34
	v_mul_f32_e32 v52, 0x3f3d2fb0, v32
	v_fmac_f32_e32 v34, 0xbe3c28d5, v37
	v_mul_f32_e32 v32, 0xbe8c1d8e, v32
	v_add_f32_e32 v48, v48, v49
	v_add_f32_e32 v49, v51, v54
	v_fmamk_f32 v51, v37, 0xbf2c7751, v52
	v_add_f32_e32 v33, v44, v33
	v_add_f32_e32 v30, v34, v30
	v_sub_f32_e32 v31, v31, v35
	v_add_f32_e32 v61, v64, v61
	v_add_f32_e32 v34, v51, v36
	v_fmamk_f32 v36, v37, 0x3f763a35, v32
	v_mul_f32_e32 v35, 0xbf7ba420, v33
	v_fmac_f32_e32 v32, 0xbf763a35, v37
	v_add_f32_e32 v57, v57, v61
	v_fmac_f32_e32 v52, 0x3f2c7751, v37
	v_add_f32_e32 v36, v36, v38
	v_fmamk_f32 v38, v31, 0x3e3c28d5, v35
	v_fmac_f32_e32 v35, 0xbe3c28d5, v31
	v_add_f32_e32 v2, v32, v2
	v_mul_f32_e32 v32, 0xbf59a7d5, v33
	v_mul_f32_e32 v37, 0x3f6eb680, v33
	v_add_f32_e32 v57, v60, v57
	v_add_f32_e32 v85, v35, v45
	;; [unrolled: 1-line block ×3, first 2 shown]
	v_fmamk_f32 v35, v31, 0x3f06c442, v32
	v_fmac_f32_e32 v32, 0xbf06c442, v31
	v_fmamk_f32 v44, v31, 0xbeb8f4ab, v37
	v_fmac_f32_e32 v37, 0x3eb8f4ab, v31
	v_mul_f32_e32 v38, 0x3f3d2fb0, v33
	v_add_f32_e32 v89, v35, v42
	v_mul_f32_e32 v35, 0xbf1a4643, v33
	v_add_f32_e32 v50, v50, v57
	v_add_f32_e32 v90, v32, v29
	;; [unrolled: 1-line block ×3, first 2 shown]
	v_fmamk_f32 v37, v31, 0xbf2c7751, v38
	v_fmamk_f32 v32, v31, 0x3f4c4adb, v35
	v_mul_f32_e32 v29, 0x3ee437d1, v33
	v_fmac_f32_e32 v35, 0xbf4c4adb, v31
	v_add_f32_e32 v39, v52, v39
	v_add_f32_e32 v96, v37, v46
	;; [unrolled: 1-line block ×3, first 2 shown]
	v_mul_f32_e32 v32, 0xbe8c1d8e, v33
	v_fmamk_f32 v37, v31, 0xbf65296c, v29
	v_mul_f32_e32 v33, 0x3dbcf732, v33
	v_add_f32_e32 v106, v35, v48
	v_fmac_f32_e32 v38, 0x3f2c7751, v31
	v_fmamk_f32 v35, v31, 0x3f763a35, v32
	v_fmac_f32_e32 v32, 0xbf763a35, v31
	v_add_f32_e32 v107, v37, v49
	v_fmac_f32_e32 v29, 0x3f65296c, v31
	v_fmamk_f32 v37, v31, 0xbf7ee86f, v33
	v_fmac_f32_e32 v33, 0x3f7ee86f, v31
	v_add_nc_u32_e32 v61, 0x400, v121
	v_add_f32_e32 v110, v32, v39
	v_add_nc_u32_e32 v39, 0x200, v121
	v_add_nc_u32_e32 v63, 0x800, v121
	v_add_f32_e32 v87, v44, v43
	v_add_f32_e32 v104, v38, v47
	;; [unrolled: 1-line block ×6, first 2 shown]
	s_waitcnt lgkmcnt(0)
	s_barrier
	buffer_gl0_inv
	ds_read_b32 v81, v101
	ds_read2_b32 v[29:30], v121 offset0:119 offset1:136
	ds_read2_b32 v[33:34], v121 offset0:221 offset1:238
	;; [unrolled: 1-line block ×17, first 2 shown]
	v_add_f32_e32 v4, v4, v123
	s_waitcnt lgkmcnt(0)
	s_barrier
	buffer_gl0_inv
	v_add_f32_e32 v4, v4, v120
	ds_write2_b32 v20, v4, v22 offset1:7
	ds_write2_b32 v20, v28, v56 offset0:14 offset1:21
	ds_write2_b32 v20, v91, v92 offset0:28 offset1:35
	ds_write2_b32 v20, v97, v98 offset0:42 offset1:49
	ds_write2_b32 v20, v99, v100 offset0:56 offset1:63
	ds_write2_b32 v20, v83, v95 offset0:70 offset1:77
	ds_write2_b32 v20, v94, v82 offset0:84 offset1:91
	ds_write2_b32 v20, v65, v23 offset0:98 offset1:105
	ds_write_b32 v20, v21 offset:448
	ds_write2_b32 v6, v93, v84 offset1:7
	ds_write2_b32 v6, v87, v89 offset0:14 offset1:21
	ds_write2_b32 v6, v96, v105 offset0:28 offset1:35
	;; [unrolled: 1-line block ×7, first 2 shown]
	ds_write_b32 v6, v85 offset:448
	s_and_saveexec_b32 s1, s0
	s_cbranch_execz .LBB0_18
; %bb.17:
	v_add_f32_e32 v2, v0, v80
	v_add_f32_e32 v4, v80, v19
	v_sub_f32_e32 v6, v76, v79
	v_add_f32_e32 v20, v78, v11
	v_sub_f32_e32 v21, v75, v77
	v_add_f32_e32 v2, v2, v78
	v_mul_f32_e32 v22, 0x3f6eb680, v4
	v_mul_f32_e32 v23, 0x3f3d2fb0, v4
	;; [unrolled: 1-line block ×4, first 2 shown]
	v_add_f32_e32 v2, v2, v74
	v_mul_f32_e32 v65, 0xbe8c1d8e, v4
	v_mul_f32_e32 v75, 0xbf1a4643, v4
	;; [unrolled: 1-line block ×4, first 2 shown]
	v_add_f32_e32 v2, v2, v55
	v_mul_f32_e32 v77, 0x3f3d2fb0, v20
	v_fmamk_f32 v83, v6, 0x3eb8f4ab, v22
	v_fmac_f32_e32 v22, 0xbeb8f4ab, v6
	v_fmamk_f32 v84, v6, 0x3f2c7751, v23
	v_add_f32_e32 v2, v2, v16
	v_fmac_f32_e32 v23, 0xbf2c7751, v6
	v_fmamk_f32 v85, v6, 0x3f65296c, v28
	v_fmac_f32_e32 v28, 0xbf65296c, v6
	v_fmamk_f32 v87, v6, 0x3f7ee86f, v56
	v_add_f32_e32 v2, v2, v13
	v_fmac_f32_e32 v56, 0xbf7ee86f, v6
	;; [unrolled: 5-line block ×4, first 2 shown]
	v_mul_f32_e32 v79, 0xbf1a4643, v20
	v_mul_f32_e32 v80, 0xbf7ba420, v20
	v_fmamk_f32 v6, v21, 0x3f2c7751, v77
	v_add_f32_e32 v2, v2, v5
	v_fmac_f32_e32 v77, 0xbf2c7751, v21
	v_add_f32_e32 v83, v0, v83
	v_add_f32_e32 v22, v0, v22
	;; [unrolled: 1-line block ×20, first 2 shown]
	v_fmamk_f32 v93, v21, 0x3f4c4adb, v79
	v_fmac_f32_e32 v79, 0xbf4c4adb, v21
	v_mul_f32_e32 v78, 0x3dbcf732, v20
	v_add_f32_e32 v2, v2, v10
	v_mul_f32_e32 v82, 0xbf59a7d5, v20
	v_add_f32_e32 v10, v74, v10
	v_add_f32_e32 v28, v79, v28
	v_fmamk_f32 v92, v21, 0x3f7ee86f, v78
	v_add_f32_e32 v0, v2, v11
	v_add_f32_e32 v2, v77, v22
	v_mul_f32_e32 v77, 0xbe8c1d8e, v20
	v_fmac_f32_e32 v78, 0xbf7ee86f, v21
	v_sub_f32_e32 v72, v72, v73
	v_add_f32_e32 v0, v0, v19
	v_fmamk_f32 v19, v21, 0x3e3c28d5, v80
	v_fmac_f32_e32 v80, 0xbe3c28d5, v21
	v_fmamk_f32 v79, v21, 0xbf763a35, v77
	v_fmac_f32_e32 v77, 0x3f763a35, v21
	v_mul_f32_e32 v73, 0x3ee437d1, v10
	v_add_f32_e32 v6, v6, v83
	v_add_f32_e32 v56, v80, v56
	v_mul_f32_e32 v80, 0x3ee437d1, v20
	v_mul_f32_e32 v20, 0x3f6eb680, v20
	v_add_f32_e32 v75, v77, v75
	v_add_f32_e32 v22, v78, v23
	v_fmamk_f32 v78, v21, 0xbf06c442, v82
	v_fmamk_f32 v74, v21, 0xbf65296c, v80
	v_fmac_f32_e32 v80, 0x3f65296c, v21
	v_fmamk_f32 v77, v21, 0xbeb8f4ab, v20
	v_fmac_f32_e32 v20, 0x3eb8f4ab, v21
	v_fmac_f32_e32 v82, 0x3f06c442, v21
	v_add_f32_e32 v11, v92, v84
	v_add_f32_e32 v21, v80, v76
	;; [unrolled: 1-line block ×3, first 2 shown]
	v_fmamk_f32 v77, v72, 0x3f65296c, v73
	v_mul_f32_e32 v80, 0xbf1a4643, v10
	v_add_f32_e32 v4, v20, v4
	v_fmac_f32_e32 v73, 0xbf65296c, v72
	v_mul_f32_e32 v20, 0xbf7ba420, v10
	v_add_f32_e32 v23, v93, v85
	v_add_f32_e32 v65, v82, v65
	;; [unrolled: 1-line block ×3, first 2 shown]
	v_fmamk_f32 v77, v72, 0x3f4c4adb, v80
	v_add_f32_e32 v2, v73, v2
	v_fmamk_f32 v73, v72, 0xbe3c28d5, v20
	v_mul_f32_e32 v82, 0xbe8c1d8e, v10
	v_add_f32_e32 v19, v19, v87
	v_add_f32_e32 v11, v77, v11
	v_mul_f32_e32 v77, 0x3f3d2fb0, v10
	v_add_f32_e32 v23, v73, v23
	v_fmamk_f32 v73, v72, 0xbf763a35, v82
	v_fmac_f32_e32 v82, 0x3f763a35, v72
	v_add_f32_e32 v78, v78, v88
	v_fmac_f32_e32 v20, 0x3e3c28d5, v72
	v_add_f32_e32 v74, v74, v90
	v_add_f32_e32 v19, v73, v19
	v_fmamk_f32 v73, v72, 0xbf2c7751, v77
	v_add_f32_e32 v56, v82, v56
	v_mul_f32_e32 v82, 0x3dbcf732, v10
	v_fmac_f32_e32 v80, 0xbf4c4adb, v72
	v_add_f32_e32 v20, v20, v28
	v_mul_f32_e32 v28, 0x3f6eb680, v10
	v_add_f32_e32 v73, v73, v78
	v_fmamk_f32 v78, v72, 0x3f7ee86f, v82
	v_mul_f32_e32 v10, 0xbf59a7d5, v10
	v_add_f32_e32 v18, v55, v18
	v_add_f32_e32 v22, v80, v22
	v_fmamk_f32 v80, v72, 0x3eb8f4ab, v28
	v_fmac_f32_e32 v28, 0xbeb8f4ab, v72
	v_add_f32_e32 v55, v78, v74
	v_fmamk_f32 v74, v72, 0x3f06c442, v10
	v_sub_f32_e32 v66, v71, v66
	v_mul_f32_e32 v71, 0x3dbcf732, v18
	v_fmac_f32_e32 v10, 0xbf06c442, v72
	v_add_f32_e32 v28, v28, v75
	v_fmac_f32_e32 v77, 0x3f2c7751, v72
	v_fmac_f32_e32 v82, 0xbf7ee86f, v72
	v_fmamk_f32 v75, v66, 0x3f7ee86f, v71
	v_fmac_f32_e32 v71, 0xbf7ee86f, v66
	v_add_f32_e32 v4, v10, v4
	v_mul_f32_e32 v10, 0xbe8c1d8e, v18
	v_add_f32_e32 v72, v74, v76
	v_mul_f32_e32 v74, 0xbf7ba420, v18
	v_add_f32_e32 v2, v71, v2
	v_add_f32_e32 v6, v75, v6
	v_fmamk_f32 v71, v66, 0xbf763a35, v10
	v_mul_f32_e32 v75, 0x3f6eb680, v18
	v_fmamk_f32 v76, v66, 0x3e3c28d5, v74
	v_fmac_f32_e32 v74, 0xbe3c28d5, v66
	v_fmac_f32_e32 v10, 0x3f763a35, v66
	v_add_f32_e32 v23, v71, v23
	v_mul_f32_e32 v71, 0x3ee437d1, v18
	v_add_f32_e32 v65, v77, v65
	v_add_f32_e32 v11, v76, v11
	;; [unrolled: 1-line block ×3, first 2 shown]
	v_fmamk_f32 v74, v66, 0xbeb8f4ab, v75
	v_add_f32_e32 v10, v10, v20
	v_mul_f32_e32 v20, 0xbf59a7d5, v18
	v_fmamk_f32 v76, v66, 0x3f65296c, v71
	v_fmac_f32_e32 v71, 0xbf65296c, v66
	v_add_f32_e32 v19, v74, v19
	v_add_f32_e32 v16, v16, v17
	v_fmamk_f32 v74, v66, 0x3f06c442, v20
	v_fmac_f32_e32 v20, 0xbf06c442, v66
	v_add_f32_e32 v65, v71, v65
	v_mul_f32_e32 v71, 0xbf1a4643, v18
	v_mul_f32_e32 v18, 0x3f3d2fb0, v18
	v_sub_f32_e32 v69, v69, v70
	v_add_f32_e32 v20, v20, v28
	v_mul_f32_e32 v70, 0xbe8c1d8e, v16
	v_fmamk_f32 v17, v66, 0xbf4c4adb, v71
	v_fmamk_f32 v28, v66, 0xbf2c7751, v18
	v_fmac_f32_e32 v18, 0x3f2c7751, v66
	v_add_f32_e32 v21, v82, v21
	v_fmac_f32_e32 v75, 0x3eb8f4ab, v66
	v_fmac_f32_e32 v71, 0x3f4c4adb, v66
	v_add_f32_e32 v17, v17, v55
	v_fmamk_f32 v55, v69, 0x3f763a35, v70
	v_mul_f32_e32 v66, 0xbf59a7d5, v16
	v_add_f32_e32 v4, v18, v4
	v_fmac_f32_e32 v70, 0xbf763a35, v69
	v_mul_f32_e32 v18, 0x3f3d2fb0, v16
	v_add_f32_e32 v79, v79, v89
	v_add_f32_e32 v21, v71, v21
	v_add_f32_e32 v6, v55, v6
	v_fmamk_f32 v55, v69, 0xbf06c442, v66
	v_fmac_f32_e32 v66, 0x3f06c442, v69
	v_add_f32_e32 v2, v70, v2
	v_fmamk_f32 v70, v69, 0xbf2c7751, v18
	v_mul_f32_e32 v71, 0x3ee437d1, v16
	v_fmac_f32_e32 v18, 0x3f2c7751, v69
	v_add_f32_e32 v77, v80, v79
	v_add_f32_e32 v56, v75, v56
	;; [unrolled: 1-line block ×4, first 2 shown]
	v_fmamk_f32 v55, v69, 0x3f65296c, v71
	v_mul_f32_e32 v66, 0xbf7ba420, v16
	v_fmac_f32_e32 v71, 0xbf65296c, v69
	v_add_f32_e32 v10, v18, v10
	v_mul_f32_e32 v18, 0x3dbcf732, v16
	v_add_f32_e32 v74, v74, v77
	v_add_f32_e32 v23, v70, v23
	;; [unrolled: 1-line block ×3, first 2 shown]
	v_fmamk_f32 v55, v69, 0x3e3c28d5, v66
	v_add_f32_e32 v56, v71, v56
	v_fmac_f32_e32 v66, 0xbe3c28d5, v69
	v_fmamk_f32 v70, v69, 0xbf7ee86f, v18
	v_mul_f32_e32 v71, 0x3f6eb680, v16
	v_mul_f32_e32 v16, 0xbf1a4643, v16
	v_add_f32_e32 v28, v28, v72
	v_add_f32_e32 v65, v66, v65
	;; [unrolled: 1-line block ×3, first 2 shown]
	v_fmamk_f32 v70, v69, 0x3eb8f4ab, v71
	v_fmac_f32_e32 v18, 0x3f7ee86f, v69
	v_add_f32_e32 v13, v13, v14
	v_fmac_f32_e32 v71, 0xbeb8f4ab, v69
	v_add_f32_e32 v8, v8, v12
	v_add_f32_e32 v14, v70, v17
	v_fmamk_f32 v17, v69, 0x3f4c4adb, v16
	v_add_f32_e32 v18, v18, v20
	v_sub_f32_e32 v20, v67, v68
	v_mul_f32_e32 v67, 0xbf1a4643, v13
	v_fmac_f32_e32 v16, 0xbf4c4adb, v69
	v_add_f32_e32 v17, v17, v28
	v_mul_f32_e32 v28, 0xbe8c1d8e, v13
	v_sub_f32_e32 v9, v9, v15
	v_fmamk_f32 v68, v20, 0x3f4c4adb, v67
	v_fmac_f32_e32 v67, 0xbf4c4adb, v20
	v_add_f32_e32 v4, v16, v4
	v_mul_f32_e32 v16, 0x3f6eb680, v13
	v_fmamk_f32 v69, v20, 0xbf763a35, v28
	v_fmac_f32_e32 v28, 0x3f763a35, v20
	v_add_f32_e32 v6, v68, v6
	v_add_f32_e32 v2, v67, v2
	v_fmamk_f32 v67, v20, 0x3eb8f4ab, v16
	v_mul_f32_e32 v68, 0xbf59a7d5, v13
	v_fmac_f32_e32 v16, 0xbeb8f4ab, v20
	v_add_f32_e32 v22, v28, v22
	v_mul_f32_e32 v28, 0x3dbcf732, v13
	v_add_f32_e32 v11, v69, v11
	v_add_f32_e32 v23, v67, v23
	v_fmamk_f32 v67, v20, 0x3f06c442, v68
	v_add_f32_e32 v10, v16, v10
	v_mul_f32_e32 v16, 0x3f3d2fb0, v13
	v_fmamk_f32 v69, v20, 0xbf7ee86f, v28
	v_fmac_f32_e32 v28, 0x3f7ee86f, v20
	v_add_f32_e32 v19, v67, v19
	v_mul_f32_e32 v15, 0xbf59a7d5, v8
	v_fmamk_f32 v67, v20, 0x3f2c7751, v16
	v_fmac_f32_e32 v16, 0xbf2c7751, v20
	v_add_f32_e32 v28, v28, v65
	v_mul_f32_e32 v65, 0xbf7ba420, v13
	v_mul_f32_e32 v13, 0x3ee437d1, v13
	v_add_f32_e32 v21, v71, v21
	v_add_f32_e32 v16, v16, v18
	v_fmac_f32_e32 v68, 0xbf06c442, v20
	v_fmamk_f32 v12, v20, 0x3e3c28d5, v65
	v_fmamk_f32 v18, v20, 0xbf65296c, v13
	v_fmac_f32_e32 v65, 0xbe3c28d5, v20
	v_fmac_f32_e32 v13, 0x3f65296c, v20
	v_mul_f32_e32 v20, 0x3ee437d1, v8
	v_add_f32_e32 v12, v12, v14
	v_add_f32_e32 v17, v18, v17
	v_fmamk_f32 v18, v9, 0x3f06c442, v15
	v_add_f32_e32 v14, v65, v21
	v_add_f32_e32 v4, v13, v4
	v_fmac_f32_e32 v15, 0xbf06c442, v9
	v_mul_f32_e32 v13, 0x3dbcf732, v8
	v_add_f32_e32 v6, v18, v6
	v_fmamk_f32 v18, v9, 0xbf65296c, v20
	v_fmac_f32_e32 v20, 0x3f65296c, v9
	v_mul_f32_e32 v21, 0xbf1a4643, v8
	v_add_f32_e32 v56, v68, v56
	v_add_f32_e32 v2, v15, v2
	v_fmamk_f32 v15, v9, 0x3f7ee86f, v13
	v_add_f32_e32 v11, v18, v11
	v_add_f32_e32 v18, v20, v22
	v_fmac_f32_e32 v13, 0xbf7ee86f, v9
	v_fmamk_f32 v20, v9, 0xbf4c4adb, v21
	v_fmac_f32_e32 v21, 0x3f4c4adb, v9
	v_mul_f32_e32 v22, 0x3f6eb680, v8
	v_add_f32_e32 v1, v1, v5
	v_add_f32_e32 v10, v13, v10
	v_mul_f32_e32 v13, 0xbf7ba420, v8
	v_add_f32_e32 v19, v20, v19
	v_add_f32_e32 v20, v21, v56
	v_fmamk_f32 v21, v9, 0x3eb8f4ab, v22
	v_fmac_f32_e32 v22, 0xbeb8f4ab, v9
	v_mul_f32_e32 v56, 0x3f3d2fb0, v8
	v_add_f32_e32 v15, v15, v23
	v_fmamk_f32 v23, v9, 0x3e3c28d5, v13
	v_fmac_f32_e32 v13, 0xbe3c28d5, v9
	v_add_f32_e32 v22, v22, v28
	v_fmamk_f32 v28, v9, 0xbf2c7751, v56
	v_mul_f32_e32 v5, 0xbe8c1d8e, v8
	v_sub_f32_e32 v3, v3, v7
	v_mul_f32_e32 v7, 0xbf7ba420, v1
	v_add_f32_e32 v13, v13, v16
	v_fmac_f32_e32 v56, 0x3f2c7751, v9
	v_add_f32_e32 v8, v28, v12
	v_fmamk_f32 v12, v9, 0x3f763a35, v5
	v_fmac_f32_e32 v5, 0xbf763a35, v9
	v_mul_f32_e32 v9, 0x3f6eb680, v1
	v_fmamk_f32 v16, v3, 0x3e3c28d5, v7
	v_fmac_f32_e32 v7, 0xbe3c28d5, v3
	v_add_f32_e32 v73, v76, v73
	v_add_f32_e32 v4, v5, v4
	v_fmamk_f32 v5, v3, 0xbeb8f4ab, v9
	v_add_f32_e32 v6, v16, v6
	v_mul_f32_e32 v16, 0xbf59a7d5, v1
	v_add_f32_e32 v2, v7, v2
	v_fmac_f32_e32 v9, 0x3eb8f4ab, v3
	v_mul_f32_e32 v7, 0x3f3d2fb0, v1
	v_add_f32_e32 v55, v55, v73
	v_add_f32_e32 v5, v5, v11
	v_fmamk_f32 v11, v3, 0x3f06c442, v16
	v_fmac_f32_e32 v16, 0xbf06c442, v3
	v_add_f32_e32 v9, v9, v18
	v_fmamk_f32 v18, v3, 0xbf2c7751, v7
	v_add_f32_e32 v55, v69, v55
	v_add_f32_e32 v12, v12, v17
	v_mul_f32_e32 v17, 0xbf1a4643, v1
	v_add_f32_e32 v10, v16, v10
	v_fmac_f32_e32 v7, 0x3f2c7751, v3
	v_add_f32_e32 v16, v18, v19
	v_mul_f32_e32 v18, 0x3ee437d1, v1
	v_mov_b32_e32 v19, 2
	v_add_f32_e32 v21, v21, v55
	v_add_f32_e32 v11, v11, v15
	v_fmamk_f32 v15, v3, 0x3f4c4adb, v17
	v_add_f32_e32 v7, v7, v20
	v_fmamk_f32 v20, v3, 0xbf65296c, v18
	v_fmac_f32_e32 v18, 0x3f65296c, v3
	v_lshlrev_b32_sdwa v19, v19, v103 dst_sel:DWORD dst_unused:UNUSED_PAD src0_sel:DWORD src1_sel:BYTE_0
	v_add_f32_e32 v66, v67, v66
	v_fmac_f32_e32 v17, 0xbf4c4adb, v3
	v_add_f32_e32 v15, v15, v21
	v_mul_f32_e32 v21, 0xbe8c1d8e, v1
	v_mul_f32_e32 v1, 0x3dbcf732, v1
	v_add_f32_e32 v13, v18, v13
	v_add3_u32 v18, 0, v19, v122
	v_add_f32_e32 v23, v23, v66
	v_add_f32_e32 v17, v17, v22
	v_fmamk_f32 v22, v3, 0x3f763a35, v21
	v_fmamk_f32 v19, v3, 0xbf7ee86f, v1
	v_fmac_f32_e32 v1, 0x3f7ee86f, v3
	v_add_f32_e32 v14, v56, v14
	v_fmac_f32_e32 v21, 0xbf763a35, v3
	v_add_nc_u32_e32 v3, 0x400, v18
	v_add_f32_e32 v20, v20, v23
	v_add_f32_e32 v8, v22, v8
	;; [unrolled: 1-line block ×3, first 2 shown]
	v_add_nc_u32_e32 v19, 0x800, v18
	v_add_f32_e32 v1, v1, v4
	v_add_f32_e32 v14, v21, v14
	ds_write2_b32 v3, v0, v6 offset0:220 offset1:227
	ds_write2_b32 v3, v5, v11 offset0:234 offset1:241
	;; [unrolled: 1-line block ×8, first 2 shown]
	ds_write_b32 v18, v2 offset:2352
.LBB0_18:
	s_or_b32 exec_lo, exec_lo, s1
	s_waitcnt lgkmcnt(0)
	s_barrier
	buffer_gl0_inv
	s_and_saveexec_b32 s0, vcc_lo
	s_cbranch_execz .LBB0_20
; %bb.19:
	v_add_nc_u32_e32 v69, 0x66, v26
	v_mov_b32_e32 v56, 0
	v_add_nc_u32_e32 v70, 0x55, v26
	v_add_nc_u32_e32 v71, 0x44, v26
	;; [unrolled: 1-line block ×3, first 2 shown]
	v_lshlrev_b32_e32 v55, 2, v69
	v_mov_b32_e32 v28, v56
	v_add_nc_u32_e32 v73, 0x400, v121
	v_add_nc_u32_e32 v80, 0x800, v121
	;; [unrolled: 1-line block ×3, first 2 shown]
	v_lshlrev_b64 v[0:1], 3, v[55:56]
	v_lshlrev_b32_e32 v55, 2, v70
	v_lshlrev_b64 v[27:28], 3, v[27:28]
	v_add_co_u32 v0, vcc_lo, s8, v0
	v_add_co_ci_u32_e32 v1, vcc_lo, s9, v1, vcc_lo
	s_clause 0x1
	global_load_dwordx4 v[12:15], v[0:1], off offset:896
	global_load_dwordx4 v[8:11], v[0:1], off offset:912
	v_lshlrev_b64 v[0:1], 3, v[55:56]
	v_lshlrev_b32_e32 v55, 2, v71
	v_lshlrev_b64 v[16:17], 3, v[55:56]
	v_lshlrev_b32_e32 v55, 2, v72
	v_add_co_u32 v0, vcc_lo, s8, v0
	v_add_co_ci_u32_e32 v1, vcc_lo, s9, v1, vcc_lo
	v_lshlrev_b64 v[65:66], 3, v[55:56]
	v_add_co_u32 v16, vcc_lo, s8, v16
	v_add_co_ci_u32_e32 v17, vcc_lo, s9, v17, vcc_lo
	s_clause 0x1
	global_load_dwordx4 v[4:7], v[0:1], off offset:896
	global_load_dwordx4 v[0:3], v[0:1], off offset:912
	v_add_co_u32 v65, vcc_lo, s8, v65
	v_add_co_ci_u32_e32 v66, vcc_lo, s9, v66, vcc_lo
	v_lshlrev_b32_e32 v55, 2, v86
	s_clause 0x3
	global_load_dwordx4 v[20:23], v[16:17], off offset:896
	global_load_dwordx4 v[16:19], v[16:17], off offset:912
	;; [unrolled: 1-line block ×4, first 2 shown]
	v_lshlrev_b64 v[65:66], 3, v[55:56]
	v_lshlrev_b32_e32 v55, 2, v102
	v_add_co_u32 v65, vcc_lo, s8, v65
	v_add_co_ci_u32_e32 v66, vcc_lo, s9, v66, vcc_lo
	s_clause 0x1
	global_load_dwordx4 v[87:90], v[65:66], off offset:896
	global_load_dwordx4 v[91:94], v[65:66], off offset:912
	v_lshlrev_b64 v[95:96], 3, v[55:56]
	v_add_co_u32 v27, vcc_lo, s8, v27
	v_add_co_ci_u32_e32 v28, vcc_lo, s9, v28, vcc_lo
	ds_read2_b32 v[65:66], v121 offset0:221 offset1:238
	v_add_co_u32 v110, vcc_lo, s8, v95
	v_add_co_ci_u32_e32 v111, vcc_lo, s9, v96, vcc_lo
	ds_read2_b32 v[78:79], v121 offset0:85 offset1:102
	ds_read2_b32 v[99:100], v121 offset0:187 offset1:204
	;; [unrolled: 1-line block ×14, first 2 shown]
	s_clause 0x3
	global_load_dwordx4 v[95:98], v[27:28], off offset:912
	global_load_dwordx4 v[102:105], v[27:28], off offset:896
	;; [unrolled: 1-line block ×4, first 2 shown]
	v_add_co_u32 v24, vcc_lo, s2, v24
	v_add_co_ci_u32_e32 v25, vcc_lo, s3, v25, vcc_lo
	s_waitcnt vmcnt(13)
	v_mul_f32_e32 v27, v33, v13
	v_mul_f32_e32 v28, v62, v15
	s_waitcnt vmcnt(12)
	v_mul_f32_e32 v55, v64, v11
	v_mul_f32_e32 v80, v35, v9
	s_waitcnt lgkmcnt(14)
	v_mul_f32_e32 v13, v65, v13
	s_waitcnt lgkmcnt(7)
	v_mul_f32_e32 v120, v123, v11
	v_mul_f32_e32 v11, v119, v15
	s_waitcnt lgkmcnt(6)
	v_mul_f32_e32 v9, v124, v9
	v_fma_f32 v15, v65, v12, -v27
	v_fma_f32 v27, v119, v14, -v28
	;; [unrolled: 1-line block ×4, first 2 shown]
	v_fmac_f32_e32 v13, v33, v12
	v_fmac_f32_e32 v120, v64, v10
	;; [unrolled: 1-line block ×4, first 2 shown]
	v_sub_f32_e32 v124, v15, v28
	v_sub_f32_e32 v139, v27, v15
	s_waitcnt vmcnt(11)
	v_mul_f32_e32 v8, v60, v5
	v_mul_f32_e32 v10, v61, v7
	s_waitcnt vmcnt(10)
	v_mul_f32_e32 v12, v63, v3
	v_mul_f32_e32 v14, v58, v1
	;; [unrolled: 1-line block ×5, first 2 shown]
	s_waitcnt lgkmcnt(5)
	v_mul_f32_e32 v62, v127, v1
	v_fma_f32 v8, v100, v4, -v8
	v_fma_f32 v100, v118, v6, -v10
	;; [unrolled: 1-line block ×4, first 2 shown]
	v_fmac_f32_e32 v5, v60, v4
	s_waitcnt vmcnt(9)
	v_mul_f32_e32 v4, v59, v21
	s_waitcnt vmcnt(8)
	v_mul_f32_e32 v12, v57, v17
	v_mul_f32_e32 v14, v99, v21
	v_mul_f32_e32 v60, v126, v17
	v_sub_f32_e32 v1, v15, v27
	v_sub_f32_e32 v3, v28, v55
	v_add_f32_e32 v7, v27, v55
	v_sub_f32_e32 v64, v13, v120
	v_sub_f32_e32 v80, v13, v11
	;; [unrolled: 1-line block ×3, first 2 shown]
	v_add_f32_e32 v123, v11, v9
	v_sub_f32_e32 v140, v55, v28
	v_add_f32_e32 v141, v15, v28
	v_sub_f32_e32 v142, v11, v13
	v_sub_f32_e32 v143, v9, v120
	v_add_f32_e32 v144, v13, v120
	v_add_f32_e32 v15, v15, v79
	;; [unrolled: 1-line block ×3, first 2 shown]
	v_fmac_f32_e32 v33, v63, v2
	v_fmac_f32_e32 v35, v61, v6
	;; [unrolled: 1-line block ×3, first 2 shown]
	v_mul_f32_e32 v6, v50, v23
	v_mul_f32_e32 v10, v52, v19
	s_waitcnt lgkmcnt(3)
	v_mul_f32_e32 v58, v131, v19
	v_mul_f32_e32 v19, v129, v23
	v_fma_f32 v99, v99, v20, -v4
	v_fma_f32 v126, v126, v16, -v12
	v_fmac_f32_e32 v14, v59, v20
	v_fmac_f32_e32 v60, v57, v16
	s_waitcnt vmcnt(7)
	v_mul_f32_e32 v16, v49, v77
	s_waitcnt vmcnt(6)
	v_mul_f32_e32 v20, v46, v83
	v_sub_f32_e32 v65, v11, v9
	v_sub_f32_e32 v138, v27, v55
	v_add_f32_e32 v61, v1, v3
	v_fma_f32 v1, -0.5, v7, v79
	v_add_f32_e32 v63, v80, v119
	v_fma_f32 v0, -0.5, v123, v54
	;; [unrolled: 2-line block ×4, first 2 shown]
	v_add_f32_e32 v15, v27, v15
	v_add_f32_e32 v11, v13, v11
	;; [unrolled: 1-line block ×3, first 2 shown]
	v_sub_f32_e32 v23, v5, v35
	v_sub_f32_e32 v119, v33, v62
	v_add_f32_e32 v123, v35, v62
	v_sub_f32_e32 v140, v100, v8
	v_sub_f32_e32 v141, v122, v118
	v_add_f32_e32 v142, v8, v118
	;; [unrolled: 3-line block ×3, first 2 shown]
	v_add_f32_e32 v146, v8, v78
	v_add_f32_e32 v147, v53, v5
	v_fma_f32 v129, v129, v22, -v6
	v_fma_f32 v131, v131, v18, -v10
	v_fmac_f32_e32 v58, v52, v18
	v_fmac_f32_e32 v19, v50, v22
	v_mul_f32_e32 v12, v48, v75
	v_mul_f32_e32 v18, v51, v85
	;; [unrolled: 1-line block ×5, first 2 shown]
	s_waitcnt lgkmcnt(2)
	v_mul_f32_e32 v59, v133, v83
	v_fma_f32 v128, v128, v76, -v16
	v_fma_f32 v133, v133, v82, -v20
	v_sub_f32_e32 v13, v8, v100
	v_sub_f32_e32 v17, v118, v122
	;; [unrolled: 1-line block ×4, first 2 shown]
	v_fmamk_f32 v4, v124, 0x3f737871, v0
	v_fmamk_f32 v7, v65, 0xbf737871, v3
	;; [unrolled: 1-line block ×3, first 2 shown]
	v_add_f32_e32 v15, v55, v15
	v_add_f32_e32 v22, v11, v9
	v_fmac_f32_e32 v3, 0x3f737871, v65
	v_fmac_f32_e32 v2, 0xbf737871, v138
	;; [unrolled: 1-line block ×3, first 2 shown]
	v_fma_f32 v9, -0.5, v21, v78
	v_add_f32_e32 v57, v23, v119
	v_fma_f32 v8, -0.5, v123, v53
	v_add_f32_e32 v77, v140, v141
	;; [unrolled: 2-line block ×4, first 2 shown]
	v_add_f32_e32 v23, v147, v35
	v_sub_f32_e32 v35, v99, v129
	v_sub_f32_e32 v53, v131, v126
	v_add_f32_e32 v83, v129, v126
	v_add_f32_e32 v140, v19, v60
	v_sub_f32_e32 v141, v99, v131
	v_sub_f32_e32 v143, v129, v99
	v_sub_f32_e32 v144, v126, v131
	v_add_f32_e32 v145, v99, v131
	v_add_f32_e32 v99, v99, v115
	;; [unrolled: 1-line block ×3, first 2 shown]
	v_fma_f32 v117, v117, v74, -v12
	v_fma_f32 v130, v130, v84, -v18
	v_fmac_f32_e32 v50, v48, v74
	v_fmac_f32_e32 v75, v51, v84
	;; [unrolled: 1-line block ×4, first 2 shown]
	s_waitcnt vmcnt(5)
	v_mul_f32_e32 v46, v40, v90
	s_waitcnt vmcnt(4)
	v_mul_f32_e32 v49, v45, v92
	s_waitcnt lgkmcnt(1)
	v_mul_f32_e32 v84, v135, v90
	v_mul_f32_e32 v90, v132, v92
	v_add_f32_e32 v92, v128, v133
	v_sub_f32_e32 v27, v5, v33
	v_sub_f32_e32 v139, v100, v122
	v_fmamk_f32 v5, v64, 0xbf737871, v1
	v_fmac_f32_e32 v1, 0x3f737871, v64
	v_add_f32_e32 v55, v13, v17
	v_sub_f32_e32 v85, v14, v58
	v_sub_f32_e32 v100, v19, v60
	;; [unrolled: 1-line block ×5, first 2 shown]
	v_add_f32_e32 v148, v14, v58
	v_mul_f32_e32 v18, v47, v88
	v_mul_f32_e32 v48, v42, v94
	;; [unrolled: 1-line block ×3, first 2 shown]
	s_waitcnt lgkmcnt(0)
	v_mul_f32_e32 v88, v137, v94
	v_fmac_f32_e32 v4, 0x3f167918, v138
	v_fmac_f32_e32 v7, 0x3f167918, v64
	;; [unrolled: 1-line block ×3, first 2 shown]
	v_add_f32_e32 v13, v28, v15
	v_add_f32_e32 v12, v120, v22
	v_fmac_f32_e32 v3, 0xbf167918, v64
	v_fmac_f32_e32 v2, 0x3f167918, v124
	;; [unrolled: 1-line block ×3, first 2 shown]
	v_fmamk_f32 v14, v127, 0x3f737871, v8
	v_fmamk_f32 v17, v54, 0x3f737871, v11
	v_add_f32_e32 v28, v122, v21
	v_add_f32_e32 v51, v23, v62
	v_fmac_f32_e32 v11, 0xbf737871, v54
	v_fmac_f32_e32 v8, 0xbf737871, v127
	v_add_f32_e32 v35, v35, v53
	v_fma_f32 v21, -0.5, v83, v115
	v_fma_f32 v20, -0.5, v140, v44
	v_add_f32_e32 v64, v143, v144
	v_fma_f32 v23, -0.5, v145, v115
	v_add_f32_e32 v53, v129, v99
	v_add_f32_e32 v74, v149, v19
	v_sub_f32_e32 v76, v117, v128
	v_sub_f32_e32 v83, v130, v133
	;; [unrolled: 1-line block ×3, first 2 shown]
	v_add_f32_e32 v120, v52, v59
	v_sub_f32_e32 v122, v117, v130
	v_sub_f32_e32 v124, v128, v117
	v_add_f32_e32 v138, v117, v130
	v_add_f32_e32 v144, v50, v75
	;; [unrolled: 1-line block ×3, first 2 shown]
	v_fma_f32 v135, v135, v89, -v46
	v_fma_f32 v132, v132, v91, -v49
	v_fma_f32 v49, -0.5, v92, v114
	v_sub_f32_e32 v142, v129, v126
	v_sub_f32_e32 v147, v60, v58
	v_fmamk_f32 v15, v27, 0xbf737871, v9
	v_fmac_f32_e32 v9, 0x3f737871, v27
	v_add_f32_e32 v62, v119, v123
	v_fma_f32 v22, -0.5, v148, v44
	v_sub_f32_e32 v99, v52, v59
	v_sub_f32_e32 v115, v50, v52
	;; [unrolled: 1-line block ×4, first 2 shown]
	v_add_f32_e32 v145, v43, v50
	v_fma_f32 v116, v116, v87, -v18
	v_fma_f32 v137, v137, v93, -v48
	v_fmac_f32_e32 v82, v47, v87
	v_fmac_f32_e32 v88, v42, v93
	;; [unrolled: 1-line block ×6, first 2 shown]
	v_add_f32_e32 v19, v118, v28
	v_add_f32_e32 v18, v33, v51
	v_fmac_f32_e32 v11, 0x3f167918, v27
	v_fmac_f32_e32 v8, 0xbf167918, v139
	v_fmamk_f32 v45, v85, 0xbf737871, v21
	v_fmamk_f32 v44, v141, 0x3f737871, v20
	;; [unrolled: 1-line block ×3, first 2 shown]
	v_fmac_f32_e32 v23, 0xbf737871, v100
	v_fmac_f32_e32 v21, 0x3f737871, v85
	;; [unrolled: 1-line block ×3, first 2 shown]
	v_add_f32_e32 v27, v126, v53
	v_add_f32_e32 v28, v74, v60
	;; [unrolled: 1-line block ×3, first 2 shown]
	v_fma_f32 v48, -0.5, v120, v43
	v_fma_f32 v51, -0.5, v138, v114
	;; [unrolled: 1-line block ×3, first 2 shown]
	v_add_f32_e32 v60, v128, v117
	v_add_f32_e32 v76, v135, v132
	v_fmamk_f32 v53, v94, 0xbf737871, v49
	v_fmac_f32_e32 v49, 0x3f737871, v94
	v_fmac_f32_e32 v5, 0xbf167918, v65
	;; [unrolled: 1-line block ×3, first 2 shown]
	v_sub_f32_e32 v119, v75, v59
	v_sub_f32_e32 v129, v133, v130
	;; [unrolled: 1-line block ×3, first 2 shown]
	v_fmac_f32_e32 v4, 0x3e9e377a, v63
	v_fmac_f32_e32 v7, 0x3e9e377a, v80
	;; [unrolled: 1-line block ×6, first 2 shown]
	v_fmamk_f32 v46, v142, 0xbf737871, v22
	v_fmac_f32_e32 v22, 0x3f737871, v142
	v_add_f32_e32 v63, v145, v52
	v_sub_f32_e32 v79, v82, v88
	v_add_f32_e32 v80, v84, v90
	v_fmac_f32_e32 v14, 0x3e9e377a, v57
	v_fmac_f32_e32 v8, 0x3e9e377a, v57
	;; [unrolled: 1-line block ×8, first 2 shown]
	v_add_f32_e32 v43, v131, v27
	v_add_f32_e32 v42, v58, v28
	v_fmamk_f32 v52, v122, 0x3f737871, v48
	v_fmamk_f32 v58, v99, 0x3f737871, v51
	;; [unrolled: 1-line block ×3, first 2 shown]
	v_fmac_f32_e32 v51, 0xbf737871, v99
	v_fmac_f32_e32 v50, 0x3f737871, v123
	;; [unrolled: 1-line block ×3, first 2 shown]
	v_add_f32_e32 v27, v133, v60
	v_fma_f32 v60, -0.5, v76, v68
	v_fmac_f32_e32 v53, 0xbf167918, v99
	v_fmac_f32_e32 v49, 0x3f167918, v99
	v_add_f32_e32 v65, v146, v147
	v_fmac_f32_e32 v5, 0x3e9e377a, v61
	v_fmac_f32_e32 v1, 0x3e9e377a, v61
	;; [unrolled: 1-line block ×4, first 2 shown]
	v_add_f32_e32 v40, v115, v119
	v_add_f32_e32 v54, v124, v129
	;; [unrolled: 1-line block ×3, first 2 shown]
	v_sub_f32_e32 v74, v116, v135
	v_fmac_f32_e32 v46, 0x3f167918, v141
	v_fmac_f32_e32 v22, 0xbf167918, v141
	v_add_f32_e32 v28, v63, v59
	v_fmac_f32_e32 v45, 0x3e9e377a, v35
	v_fmac_f32_e32 v44, 0x3e9e377a, v62
	;; [unrolled: 1-line block ×12, first 2 shown]
	v_add_f32_e32 v62, v130, v27
	v_fmac_f32_e32 v53, 0x3e9e377a, v33
	v_fmac_f32_e32 v49, 0x3e9e377a, v33
	v_sub_f32_e32 v27, v137, v132
	v_fma_f32 v59, -0.5, v80, v38
	v_sub_f32_e32 v35, v116, v137
	v_fmamk_f32 v64, v79, 0xbf737871, v60
	v_sub_f32_e32 v33, v84, v90
	v_fmac_f32_e32 v60, 0x3f737871, v79
	v_fmac_f32_e32 v46, 0x3e9e377a, v65
	;; [unrolled: 1-line block ×9, first 2 shown]
	v_sub_f32_e32 v40, v82, v84
	v_sub_f32_e32 v54, v88, v90
	v_fmamk_f32 v63, v35, 0x3f737871, v59
	v_sub_f32_e32 v65, v135, v132
	v_add_f32_e32 v27, v74, v27
	v_fmac_f32_e32 v64, 0xbf167918, v33
	v_add_f32_e32 v61, v75, v28
	v_fmac_f32_e32 v59, 0xbf737871, v35
	v_fmac_f32_e32 v60, 0x3f167918, v33
	v_add_f32_e32 v28, v116, v137
	v_add_f32_e32 v40, v40, v54
	v_fmac_f32_e32 v63, 0x3f167918, v65
	v_fmac_f32_e32 v64, 0x3e9e377a, v27
	;; [unrolled: 1-line block ×4, first 2 shown]
	v_sub_f32_e32 v27, v135, v116
	v_sub_f32_e32 v54, v132, v137
	v_fma_f32 v75, -0.5, v28, v68
	v_add_f32_e32 v28, v82, v88
	v_fmamk_f32 v16, v139, 0xbf737871, v10
	v_fmac_f32_e32 v10, 0x3f737871, v139
	v_fmac_f32_e32 v63, 0x3e9e377a, v40
	;; [unrolled: 1-line block ×3, first 2 shown]
	v_add_f32_e32 v40, v116, v68
	v_add_f32_e32 v68, v27, v54
	v_fma_f32 v74, -0.5, v28, v38
	ds_read2_b32 v[27:28], v121 offset0:119 offset1:136
	v_fmac_f32_e32 v16, 0x3f167918, v127
	v_fmac_f32_e32 v10, 0xbf167918, v127
	;; [unrolled: 1-line block ×4, first 2 shown]
	ds_read2_b32 v[54:55], v73 offset0:101 offset1:118
	v_fmac_f32_e32 v17, 0x3e9e377a, v77
	v_fmac_f32_e32 v16, 0x3e9e377a, v78
	;; [unrolled: 1-line block ×4, first 2 shown]
	v_fmamk_f32 v77, v33, 0x3f737871, v75
	v_fmac_f32_e32 v75, 0xbf737871, v33
	v_add_f32_e32 v33, v135, v40
	v_sub_f32_e32 v40, v84, v82
	v_sub_f32_e32 v78, v90, v88
	v_fmamk_f32 v76, v65, 0xbf737871, v74
	v_fmac_f32_e32 v77, 0xbf167918, v79
	v_fmac_f32_e32 v75, 0x3f167918, v79
	;; [unrolled: 1-line block ×3, first 2 shown]
	v_add_f32_e32 v73, v40, v78
	s_waitcnt vmcnt(0)
	v_mul_f32_e32 v40, v30, v111
	v_fmac_f32_e32 v76, 0x3f167918, v35
	v_fmac_f32_e32 v77, 0x3e9e377a, v68
	;; [unrolled: 1-line block ×3, first 2 shown]
	v_mul_f32_e32 v65, v39, v113
	v_fmac_f32_e32 v74, 0xbf167918, v35
	v_add_f32_e32 v35, v38, v82
	v_mul_f32_e32 v38, v32, v107
	s_waitcnt lgkmcnt(1)
	v_fma_f32 v68, v28, v110, -v40
	v_mul_f32_e32 v40, v41, v109
	v_fma_f32 v65, v134, v112, -v65
	v_mul_f32_e32 v28, v28, v111
	s_waitcnt lgkmcnt(0)
	v_fma_f32 v38, v55, v106, -v38
	v_mul_f32_e32 v87, v136, v109
	v_fma_f32 v80, v136, v108, -v40
	v_mul_f32_e32 v89, v134, v113
	v_mul_f32_e32 v55, v55, v107
	v_sub_f32_e32 v78, v68, v65
	v_fmac_f32_e32 v28, v30, v110
	v_fmac_f32_e32 v87, v41, v108
	v_sub_f32_e32 v30, v80, v38
	v_fmac_f32_e32 v89, v39, v112
	v_fmac_f32_e32 v55, v32, v106
	v_add_f32_e32 v35, v35, v84
	v_add_f32_e32 v40, v65, v38
	;; [unrolled: 1-line block ×3, first 2 shown]
	v_sub_f32_e32 v78, v28, v89
	v_sub_f32_e32 v82, v87, v55
	v_add_f32_e32 v32, v35, v90
	v_fma_f32 v40, -0.5, v40, v67
	v_sub_f32_e32 v41, v28, v87
	v_add_f32_e32 v35, v89, v55
	v_add_f32_e32 v90, v78, v82
	;; [unrolled: 1-line block ×4, first 2 shown]
	v_sub_f32_e32 v91, v65, v38
	v_fmac_f32_e32 v76, 0x3e9e377a, v73
	v_fmac_f32_e32 v74, 0x3e9e377a, v73
	v_fma_f32 v82, -0.5, v82, v37
	v_fmamk_f32 v79, v41, 0xbf737871, v40
	v_sub_f32_e32 v73, v89, v55
	v_fma_f32 v39, -0.5, v35, v37
	v_sub_f32_e32 v35, v68, v80
	v_fma_f32 v83, -0.5, v83, v67
	v_fmamk_f32 v84, v91, 0xbf737871, v82
	v_fmac_f32_e32 v82, 0x3f737871, v91
	v_fmac_f32_e32 v40, 0x3f737871, v41
	v_add_f32_e32 v67, v68, v67
	v_fmac_f32_e32 v79, 0xbf167918, v73
	v_fmamk_f32 v78, v35, 0x3f737871, v39
	v_fmac_f32_e32 v84, 0x3f167918, v35
	v_fmac_f32_e32 v39, 0xbf737871, v35
	;; [unrolled: 1-line block ×4, first 2 shown]
	v_add_f32_e32 v35, v65, v67
	v_fmamk_f32 v85, v73, 0x3f737871, v83
	v_fmac_f32_e32 v79, 0x3e9e377a, v30
	v_fmac_f32_e32 v83, 0xbf737871, v73
	;; [unrolled: 1-line block ×3, first 2 shown]
	v_add_f32_e32 v30, v38, v35
	v_mul_f32_e32 v35, v34, v105
	v_sub_f32_e32 v93, v38, v80
	v_sub_f32_e32 v94, v89, v28
	v_fmac_f32_e32 v85, 0xbf167918, v41
	v_fmac_f32_e32 v83, 0x3f167918, v41
	v_add_f32_e32 v28, v37, v28
	ds_read_b32 v38, v101
	v_mul_f32_e32 v37, v31, v96
	v_mul_f32_e32 v41, v29, v103
	v_fma_f32 v67, v66, v104, -v35
	v_mul_f32_e32 v35, v36, v98
	v_sub_f32_e32 v92, v65, v68
	v_add_f32_e32 v32, v88, v32
	v_add_f32_e32 v30, v80, v30
	;; [unrolled: 1-line block ×3, first 2 shown]
	v_fma_f32 v68, v54, v95, -v37
	v_fma_f32 v41, v27, v102, -v41
	v_mul_f32_e32 v27, v27, v103
	v_mul_f32_e32 v73, v125, v98
	;; [unrolled: 1-line block ×4, first 2 shown]
	v_fma_f32 v89, v125, v97, -v35
	v_fmac_f32_e32 v27, v29, v102
	v_fmac_f32_e32 v73, v36, v97
	;; [unrolled: 1-line block ×4, first 2 shown]
	v_add_f32_e32 v28, v28, v55
	v_sub_f32_e32 v36, v41, v67
	v_sub_f32_e32 v54, v89, v68
	;; [unrolled: 1-line block ×3, first 2 shown]
	v_fmac_f32_e32 v78, 0x3f167918, v91
	v_add_f32_e32 v92, v92, v93
	v_fmac_f32_e32 v39, 0xbf167918, v91
	v_add_f32_e32 v29, v87, v28
	v_add_f32_e32 v87, v36, v54
	v_sub_f32_e32 v54, v27, v80
	v_sub_f32_e32 v55, v73, v88
	v_add_f32_e32 v65, v41, v89
	v_add_f32_e32 v66, v27, v73
	v_fmac_f32_e32 v78, 0x3e9e377a, v90
	v_fmac_f32_e32 v85, 0x3e9e377a, v92
	;; [unrolled: 1-line block ×4, first 2 shown]
	v_add_f32_e32 v37, v67, v68
	v_add_f32_e32 v34, v80, v88
	v_sub_f32_e32 v90, v80, v88
	v_sub_f32_e32 v91, v67, v68
	v_add_f32_e32 v92, v54, v55
	s_waitcnt lgkmcnt(0)
	v_fma_f32 v55, -0.5, v65, v38
	v_fma_f32 v54, -0.5, v66, v81
	;; [unrolled: 1-line block ×3, first 2 shown]
	v_sub_f32_e32 v31, v27, v73
	v_fma_f32 v34, -0.5, v34, v81
	v_sub_f32_e32 v28, v41, v89
	v_fmamk_f32 v66, v90, 0x3f737871, v55
	v_sub_f32_e32 v95, v80, v27
	v_fmamk_f32 v65, v91, 0xbf737871, v54
	v_fmac_f32_e32 v55, 0xbf737871, v90
	v_fmac_f32_e32 v54, 0x3f737871, v91
	v_add_f32_e32 v38, v41, v38
	v_add_f32_e32 v27, v81, v27
	;; [unrolled: 1-line block ×3, first 2 shown]
	v_fmamk_f32 v37, v31, 0xbf737871, v35
	v_fmamk_f32 v36, v28, 0x3f737871, v34
	v_fmac_f32_e32 v66, 0xbf167918, v31
	v_fmac_f32_e32 v65, 0x3f167918, v28
	;; [unrolled: 1-line block ×6, first 2 shown]
	v_add_f32_e32 v28, v67, v38
	v_add_f32_e32 v31, v27, v80
	v_mov_b32_e32 v27, v56
	v_fmac_f32_e32 v84, 0x3e9e377a, v93
	v_fmac_f32_e32 v82, 0x3e9e377a, v93
	v_sub_f32_e32 v93, v67, v41
	v_sub_f32_e32 v94, v68, v89
	;; [unrolled: 1-line block ×3, first 2 shown]
	v_add_f32_e32 v28, v68, v28
	v_lshlrev_b64 v[67:68], 3, v[26:27]
	v_mul_hi_u32 v26, 0x44d72045, v86
	v_add_f32_e32 v31, v31, v88
	v_fmac_f32_e32 v35, 0x3f167918, v90
	v_fmac_f32_e32 v34, 0xbf167918, v91
	v_add_f32_e32 v93, v93, v94
	v_add_f32_e32 v94, v95, v96
	v_add_co_u32 v24, vcc_lo, v24, v67
	v_add_f32_e32 v28, v89, v28
	v_add_f32_e32 v27, v73, v31
	v_add_co_ci_u32_e32 v25, vcc_lo, v25, v68, vcc_lo
	v_lshrrev_b32_e32 v26, 5, v26
	v_fmac_f32_e32 v35, 0x3e9e377a, v87
	v_fmac_f32_e32 v34, 0x3e9e377a, v92
	;; [unrolled: 1-line block ×6, first 2 shown]
	global_store_dwordx2 v[24:25], v[27:28], off
	global_store_dwordx2 v[24:25], v[34:35], off offset:952
	global_store_dwordx2 v[24:25], v[54:55], off offset:1904
	v_mul_u32_u24_e32 v55, 0x1dc, v26
	v_mul_hi_u32 v28, 0x44d72045, v72
	v_add_co_u32 v67, vcc_lo, 0x800, v24
	v_fmac_f32_e32 v66, 0x3e9e377a, v93
	v_fmac_f32_e32 v65, 0x3e9e377a, v94
	v_add_co_ci_u32_e32 v68, vcc_lo, 0, v25, vcc_lo
	v_fmac_f32_e32 v37, 0x3e9e377a, v87
	v_fmac_f32_e32 v36, 0x3e9e377a, v92
	v_lshlrev_b64 v[26:27], 3, v[55:56]
	v_add_f32_e32 v33, v132, v33
	global_store_dwordx2 v[67:68], v[65:66], off offset:808
	global_store_dwordx2 v[67:68], v[36:37], off offset:1760
	;; [unrolled: 1-line block ×4, first 2 shown]
	v_lshrrev_b32_e32 v30, 5, v28
	global_store_dwordx2 v[24:25], v[82:83], off offset:2040
	global_store_dwordx2 v[67:68], v[84:85], off offset:944
	;; [unrolled: 1-line block ×3, first 2 shown]
	v_add_co_u32 v26, vcc_lo, v24, v26
	v_add_f32_e32 v33, v137, v33
	v_add_co_ci_u32_e32 v27, vcc_lo, v25, v27, vcc_lo
	v_mul_u32_u24_e32 v55, 0x1dc, v30
	v_add_co_u32 v28, vcc_lo, 0x110, v26
	v_add_co_ci_u32_e32 v29, vcc_lo, 0, v27, vcc_lo
	global_store_dwordx2 v[26:27], v[32:33], off offset:272
	v_lshlrev_b64 v[32:33], 3, v[55:56]
	v_mul_hi_u32 v34, 0x44d72045, v71
	v_add_co_u32 v30, vcc_lo, 0x800, v26
	v_add_co_ci_u32_e32 v31, vcc_lo, 0, v27, vcc_lo
	global_store_dwordx2 v[26:27], v[59:60], off offset:1224
	global_store_dwordx2 v[28:29], v[74:75], off offset:1904
	;; [unrolled: 1-line block ×3, first 2 shown]
	v_add_co_u32 v26, vcc_lo, v24, v32
	v_add_co_ci_u32_e32 v27, vcc_lo, v25, v33, vcc_lo
	v_lshrrev_b32_e32 v32, 5, v34
	v_add_co_u32 v28, vcc_lo, 0x198, v26
	v_add_co_ci_u32_e32 v29, vcc_lo, 0, v27, vcc_lo
	v_mul_u32_u24_e32 v55, 0x1dc, v32
	global_store_dwordx2 v[30:31], v[63:64], off offset:2032
	v_add_co_u32 v30, vcc_lo, 0x800, v26
	v_add_co_ci_u32_e32 v31, vcc_lo, 0, v27, vcc_lo
	global_store_dwordx2 v[26:27], v[61:62], off offset:408
	global_store_dwordx2 v[26:27], v[48:49], off offset:1360
	;; [unrolled: 1-line block ×4, first 2 shown]
	v_lshlrev_b64 v[28:29], 3, v[55:56]
	v_mul_hi_u32 v30, 0x44d72045, v70
	v_add_co_u32 v26, vcc_lo, 0x1000, v26
	v_add_co_ci_u32_e32 v27, vcc_lo, 0, v27, vcc_lo
	v_add_co_u32 v28, vcc_lo, v24, v28
	v_add_co_ci_u32_e32 v29, vcc_lo, v25, v29, vcc_lo
	v_lshrrev_b32_e32 v32, 5, v30
	global_store_dwordx2 v[26:27], v[52:53], off offset:120
	v_add_co_u32 v26, vcc_lo, 0x220, v28
	v_add_co_ci_u32_e32 v27, vcc_lo, 0, v29, vcc_lo
	v_mul_u32_u24_e32 v55, 0x1dc, v32
	v_add_co_u32 v30, vcc_lo, 0x800, v28
	v_add_co_ci_u32_e32 v31, vcc_lo, 0, v29, vcc_lo
	global_store_dwordx2 v[28:29], v[42:43], off offset:544
	global_store_dwordx2 v[28:29], v[20:21], off offset:1496
	;; [unrolled: 1-line block ×4, first 2 shown]
	v_lshlrev_b64 v[20:21], 3, v[55:56]
	v_mul_hi_u32 v26, 0x44d72045, v69
	v_add_co_u32 v22, vcc_lo, 0x1000, v28
	v_add_co_ci_u32_e32 v23, vcc_lo, 0, v29, vcc_lo
	v_add_co_u32 v20, vcc_lo, v24, v20
	v_add_co_ci_u32_e32 v21, vcc_lo, v25, v21, vcc_lo
	v_lshrrev_b32_e32 v28, 5, v26
	global_store_dwordx2 v[22:23], v[44:45], off offset:256
	v_add_co_u32 v22, vcc_lo, 0x2a8, v20
	v_add_co_ci_u32_e32 v23, vcc_lo, 0, v21, vcc_lo
	v_mul_u32_u24_e32 v55, 0x1dc, v28
	v_add_co_u32 v26, vcc_lo, 0x800, v20
	v_add_co_ci_u32_e32 v27, vcc_lo, 0, v21, vcc_lo
	global_store_dwordx2 v[20:21], v[18:19], off offset:680
	global_store_dwordx2 v[20:21], v[8:9], off offset:1632
	;; [unrolled: 1-line block ×4, first 2 shown]
	v_lshlrev_b64 v[8:9], 3, v[55:56]
	v_add_co_u32 v10, vcc_lo, 0x1000, v20
	v_add_co_ci_u32_e32 v11, vcc_lo, 0, v21, vcc_lo
	v_add_co_u32 v8, vcc_lo, v24, v8
	v_add_co_ci_u32_e32 v9, vcc_lo, v25, v9, vcc_lo
	global_store_dwordx2 v[10:11], v[14:15], off offset:392
	v_add_co_u32 v10, vcc_lo, 0x330, v8
	v_add_co_ci_u32_e32 v11, vcc_lo, 0, v9, vcc_lo
	v_add_co_u32 v14, vcc_lo, 0x800, v8
	v_add_co_ci_u32_e32 v15, vcc_lo, 0, v9, vcc_lo
	;; [unrolled: 2-line block ×3, first 2 shown]
	global_store_dwordx2 v[8:9], v[12:13], off offset:816
	global_store_dwordx2 v[8:9], v[0:1], off offset:1768
	;; [unrolled: 1-line block ×5, first 2 shown]
.LBB0_20:
	s_endpgm
	.section	.rodata,"a",@progbits
	.p2align	6, 0x0
	.amdhsa_kernel fft_rtc_back_len595_factors_7_17_5_wgs_51_tpt_17_halfLds_sp_ip_CI_unitstride_sbrr_dirReg
		.amdhsa_group_segment_fixed_size 0
		.amdhsa_private_segment_fixed_size 0
		.amdhsa_kernarg_size 88
		.amdhsa_user_sgpr_count 6
		.amdhsa_user_sgpr_private_segment_buffer 1
		.amdhsa_user_sgpr_dispatch_ptr 0
		.amdhsa_user_sgpr_queue_ptr 0
		.amdhsa_user_sgpr_kernarg_segment_ptr 1
		.amdhsa_user_sgpr_dispatch_id 0
		.amdhsa_user_sgpr_flat_scratch_init 0
		.amdhsa_user_sgpr_private_segment_size 0
		.amdhsa_wavefront_size32 1
		.amdhsa_uses_dynamic_stack 0
		.amdhsa_system_sgpr_private_segment_wavefront_offset 0
		.amdhsa_system_sgpr_workgroup_id_x 1
		.amdhsa_system_sgpr_workgroup_id_y 0
		.amdhsa_system_sgpr_workgroup_id_z 0
		.amdhsa_system_sgpr_workgroup_info 0
		.amdhsa_system_vgpr_workitem_id 0
		.amdhsa_next_free_vgpr 211
		.amdhsa_next_free_sgpr 21
		.amdhsa_reserve_vcc 1
		.amdhsa_reserve_flat_scratch 0
		.amdhsa_float_round_mode_32 0
		.amdhsa_float_round_mode_16_64 0
		.amdhsa_float_denorm_mode_32 3
		.amdhsa_float_denorm_mode_16_64 3
		.amdhsa_dx10_clamp 1
		.amdhsa_ieee_mode 1
		.amdhsa_fp16_overflow 0
		.amdhsa_workgroup_processor_mode 1
		.amdhsa_memory_ordered 1
		.amdhsa_forward_progress 0
		.amdhsa_shared_vgpr_count 0
		.amdhsa_exception_fp_ieee_invalid_op 0
		.amdhsa_exception_fp_denorm_src 0
		.amdhsa_exception_fp_ieee_div_zero 0
		.amdhsa_exception_fp_ieee_overflow 0
		.amdhsa_exception_fp_ieee_underflow 0
		.amdhsa_exception_fp_ieee_inexact 0
		.amdhsa_exception_int_div_zero 0
	.end_amdhsa_kernel
	.text
.Lfunc_end0:
	.size	fft_rtc_back_len595_factors_7_17_5_wgs_51_tpt_17_halfLds_sp_ip_CI_unitstride_sbrr_dirReg, .Lfunc_end0-fft_rtc_back_len595_factors_7_17_5_wgs_51_tpt_17_halfLds_sp_ip_CI_unitstride_sbrr_dirReg
                                        ; -- End function
	.section	.AMDGPU.csdata,"",@progbits
; Kernel info:
; codeLenInByte = 25572
; NumSgprs: 23
; NumVgprs: 211
; ScratchSize: 0
; MemoryBound: 0
; FloatMode: 240
; IeeeMode: 1
; LDSByteSize: 0 bytes/workgroup (compile time only)
; SGPRBlocks: 2
; VGPRBlocks: 26
; NumSGPRsForWavesPerEU: 23
; NumVGPRsForWavesPerEU: 211
; Occupancy: 4
; WaveLimiterHint : 1
; COMPUTE_PGM_RSRC2:SCRATCH_EN: 0
; COMPUTE_PGM_RSRC2:USER_SGPR: 6
; COMPUTE_PGM_RSRC2:TRAP_HANDLER: 0
; COMPUTE_PGM_RSRC2:TGID_X_EN: 1
; COMPUTE_PGM_RSRC2:TGID_Y_EN: 0
; COMPUTE_PGM_RSRC2:TGID_Z_EN: 0
; COMPUTE_PGM_RSRC2:TIDIG_COMP_CNT: 0
	.text
	.p2alignl 6, 3214868480
	.fill 48, 4, 3214868480
	.type	__hip_cuid_274cdf3e527ebcaf,@object ; @__hip_cuid_274cdf3e527ebcaf
	.section	.bss,"aw",@nobits
	.globl	__hip_cuid_274cdf3e527ebcaf
__hip_cuid_274cdf3e527ebcaf:
	.byte	0                               ; 0x0
	.size	__hip_cuid_274cdf3e527ebcaf, 1

	.ident	"AMD clang version 19.0.0git (https://github.com/RadeonOpenCompute/llvm-project roc-6.4.0 25133 c7fe45cf4b819c5991fe208aaa96edf142730f1d)"
	.section	".note.GNU-stack","",@progbits
	.addrsig
	.addrsig_sym __hip_cuid_274cdf3e527ebcaf
	.amdgpu_metadata
---
amdhsa.kernels:
  - .args:
      - .actual_access:  read_only
        .address_space:  global
        .offset:         0
        .size:           8
        .value_kind:     global_buffer
      - .offset:         8
        .size:           8
        .value_kind:     by_value
      - .actual_access:  read_only
        .address_space:  global
        .offset:         16
        .size:           8
        .value_kind:     global_buffer
      - .actual_access:  read_only
        .address_space:  global
        .offset:         24
        .size:           8
        .value_kind:     global_buffer
      - .offset:         32
        .size:           8
        .value_kind:     by_value
      - .actual_access:  read_only
        .address_space:  global
        .offset:         40
        .size:           8
        .value_kind:     global_buffer
      - .actual_access:  read_only
        .address_space:  global
        .offset:         48
        .size:           8
        .value_kind:     global_buffer
      - .offset:         56
        .size:           4
        .value_kind:     by_value
      - .actual_access:  read_only
        .address_space:  global
        .offset:         64
        .size:           8
        .value_kind:     global_buffer
      - .actual_access:  read_only
        .address_space:  global
        .offset:         72
        .size:           8
        .value_kind:     global_buffer
      - .address_space:  global
        .offset:         80
        .size:           8
        .value_kind:     global_buffer
    .group_segment_fixed_size: 0
    .kernarg_segment_align: 8
    .kernarg_segment_size: 88
    .language:       OpenCL C
    .language_version:
      - 2
      - 0
    .max_flat_workgroup_size: 51
    .name:           fft_rtc_back_len595_factors_7_17_5_wgs_51_tpt_17_halfLds_sp_ip_CI_unitstride_sbrr_dirReg
    .private_segment_fixed_size: 0
    .sgpr_count:     23
    .sgpr_spill_count: 0
    .symbol:         fft_rtc_back_len595_factors_7_17_5_wgs_51_tpt_17_halfLds_sp_ip_CI_unitstride_sbrr_dirReg.kd
    .uniform_work_group_size: 1
    .uses_dynamic_stack: false
    .vgpr_count:     211
    .vgpr_spill_count: 0
    .wavefront_size: 32
    .workgroup_processor_mode: 1
amdhsa.target:   amdgcn-amd-amdhsa--gfx1030
amdhsa.version:
  - 1
  - 2
...

	.end_amdgpu_metadata
